;; amdgpu-corpus repo=ROCm/rocFFT kind=compiled arch=gfx950 opt=O3
	.text
	.amdgcn_target "amdgcn-amd-amdhsa--gfx950"
	.amdhsa_code_object_version 6
	.protected	fft_rtc_back_len1260_factors_2_2_3_3_5_7_wgs_63_tpt_63_halfLds_half_ip_CI_unitstride_sbrr_R2C_dirReg ; -- Begin function fft_rtc_back_len1260_factors_2_2_3_3_5_7_wgs_63_tpt_63_halfLds_half_ip_CI_unitstride_sbrr_R2C_dirReg
	.globl	fft_rtc_back_len1260_factors_2_2_3_3_5_7_wgs_63_tpt_63_halfLds_half_ip_CI_unitstride_sbrr_R2C_dirReg
	.p2align	8
	.type	fft_rtc_back_len1260_factors_2_2_3_3_5_7_wgs_63_tpt_63_halfLds_half_ip_CI_unitstride_sbrr_R2C_dirReg,@function
fft_rtc_back_len1260_factors_2_2_3_3_5_7_wgs_63_tpt_63_halfLds_half_ip_CI_unitstride_sbrr_R2C_dirReg: ; @fft_rtc_back_len1260_factors_2_2_3_3_5_7_wgs_63_tpt_63_halfLds_half_ip_CI_unitstride_sbrr_R2C_dirReg
; %bb.0:
	s_load_dwordx2 s[8:9], s[0:1], 0x50
	s_load_dwordx4 s[4:7], s[0:1], 0x0
	s_load_dwordx2 s[10:11], s[0:1], 0x18
	v_mul_u32_u24_e32 v1, 0x411, v0
	v_add_u32_sdwa v6, s2, v1 dst_sel:DWORD dst_unused:UNUSED_PAD src0_sel:DWORD src1_sel:WORD_1
	v_mov_b32_e32 v4, 0
	s_waitcnt lgkmcnt(0)
	v_cmp_lt_u64_e64 s[2:3], s[6:7], 2
	v_mov_b32_e32 v7, v4
	s_and_b64 vcc, exec, s[2:3]
	v_mov_b64_e32 v[2:3], 0
	s_cbranch_vccnz .LBB0_8
; %bb.1:
	s_load_dwordx2 s[2:3], s[0:1], 0x10
	s_add_u32 s12, s10, 8
	s_addc_u32 s13, s11, 0
	s_mov_b64 s[14:15], 1
	v_mov_b64_e32 v[2:3], 0
	s_waitcnt lgkmcnt(0)
	s_add_u32 s16, s2, 8
	s_addc_u32 s17, s3, 0
.LBB0_2:                                ; =>This Inner Loop Header: Depth=1
	s_load_dwordx2 s[18:19], s[16:17], 0x0
                                        ; implicit-def: $vgpr8_vgpr9
	s_waitcnt lgkmcnt(0)
	v_or_b32_e32 v5, s19, v7
	v_cmp_ne_u64_e32 vcc, 0, v[4:5]
	s_and_saveexec_b64 s[2:3], vcc
	s_xor_b64 s[20:21], exec, s[2:3]
	s_cbranch_execz .LBB0_4
; %bb.3:                                ;   in Loop: Header=BB0_2 Depth=1
	v_cvt_f32_u32_e32 v1, s18
	v_cvt_f32_u32_e32 v5, s19
	s_sub_u32 s2, 0, s18
	s_subb_u32 s3, 0, s19
	v_fmac_f32_e32 v1, 0x4f800000, v5
	v_rcp_f32_e32 v1, v1
	s_nop 0
	v_mul_f32_e32 v1, 0x5f7ffffc, v1
	v_mul_f32_e32 v5, 0x2f800000, v1
	v_trunc_f32_e32 v5, v5
	v_fmac_f32_e32 v1, 0xcf800000, v5
	v_cvt_u32_f32_e32 v5, v5
	v_cvt_u32_f32_e32 v1, v1
	v_mul_lo_u32 v8, s2, v5
	v_mul_hi_u32 v10, s2, v1
	v_mul_lo_u32 v9, s3, v1
	v_add_u32_e32 v10, v10, v8
	v_mul_lo_u32 v12, s2, v1
	v_add_u32_e32 v13, v10, v9
	v_mul_hi_u32 v8, v1, v12
	v_mul_hi_u32 v11, v1, v13
	v_mul_lo_u32 v10, v1, v13
	v_mov_b32_e32 v9, v4
	v_lshl_add_u64 v[8:9], v[8:9], 0, v[10:11]
	v_mul_hi_u32 v11, v5, v12
	v_mul_lo_u32 v12, v5, v12
	v_add_co_u32_e32 v8, vcc, v8, v12
	v_mul_hi_u32 v10, v5, v13
	s_nop 0
	v_addc_co_u32_e32 v8, vcc, v9, v11, vcc
	v_mov_b32_e32 v9, v4
	s_nop 0
	v_addc_co_u32_e32 v11, vcc, 0, v10, vcc
	v_mul_lo_u32 v10, v5, v13
	v_lshl_add_u64 v[8:9], v[8:9], 0, v[10:11]
	v_add_co_u32_e32 v1, vcc, v1, v8
	v_mul_lo_u32 v10, s2, v1
	s_nop 0
	v_addc_co_u32_e32 v5, vcc, v5, v9, vcc
	v_mul_lo_u32 v8, s2, v5
	v_mul_hi_u32 v9, s2, v1
	v_add_u32_e32 v8, v9, v8
	v_mul_lo_u32 v9, s3, v1
	v_add_u32_e32 v12, v8, v9
	v_mul_hi_u32 v14, v5, v10
	v_mul_lo_u32 v15, v5, v10
	v_mul_hi_u32 v9, v1, v12
	v_mul_lo_u32 v8, v1, v12
	v_mul_hi_u32 v10, v1, v10
	v_mov_b32_e32 v11, v4
	v_lshl_add_u64 v[8:9], v[10:11], 0, v[8:9]
	v_add_co_u32_e32 v8, vcc, v8, v15
	v_mul_hi_u32 v13, v5, v12
	s_nop 0
	v_addc_co_u32_e32 v8, vcc, v9, v14, vcc
	v_mul_lo_u32 v10, v5, v12
	s_nop 0
	v_addc_co_u32_e32 v11, vcc, 0, v13, vcc
	v_mov_b32_e32 v9, v4
	v_lshl_add_u64 v[8:9], v[8:9], 0, v[10:11]
	v_add_co_u32_e32 v1, vcc, v1, v8
	v_mul_hi_u32 v10, v6, v1
	s_nop 0
	v_addc_co_u32_e32 v5, vcc, v5, v9, vcc
	v_mad_u64_u32 v[8:9], s[2:3], v6, v5, 0
	v_mov_b32_e32 v11, v4
	v_lshl_add_u64 v[8:9], v[10:11], 0, v[8:9]
	v_mad_u64_u32 v[12:13], s[2:3], v7, v1, 0
	v_add_co_u32_e32 v1, vcc, v8, v12
	v_mad_u64_u32 v[10:11], s[2:3], v7, v5, 0
	s_nop 0
	v_addc_co_u32_e32 v8, vcc, v9, v13, vcc
	v_mov_b32_e32 v9, v4
	s_nop 0
	v_addc_co_u32_e32 v11, vcc, 0, v11, vcc
	v_lshl_add_u64 v[8:9], v[8:9], 0, v[10:11]
	v_mul_lo_u32 v1, s19, v8
	v_mul_lo_u32 v5, s18, v9
	v_mad_u64_u32 v[10:11], s[2:3], s18, v8, 0
	v_add3_u32 v1, v11, v5, v1
	v_sub_u32_e32 v5, v7, v1
	v_mov_b32_e32 v11, s19
	v_sub_co_u32_e32 v14, vcc, v6, v10
	v_lshl_add_u64 v[12:13], v[8:9], 0, 1
	s_nop 0
	v_subb_co_u32_e64 v5, s[2:3], v5, v11, vcc
	v_subrev_co_u32_e64 v10, s[2:3], s18, v14
	v_subb_co_u32_e32 v1, vcc, v7, v1, vcc
	s_nop 0
	v_subbrev_co_u32_e64 v5, s[2:3], 0, v5, s[2:3]
	v_cmp_le_u32_e64 s[2:3], s19, v5
	v_cmp_le_u32_e32 vcc, s19, v1
	s_nop 0
	v_cndmask_b32_e64 v11, 0, -1, s[2:3]
	v_cmp_le_u32_e64 s[2:3], s18, v10
	s_nop 1
	v_cndmask_b32_e64 v10, 0, -1, s[2:3]
	v_cmp_eq_u32_e64 s[2:3], s19, v5
	s_nop 1
	v_cndmask_b32_e64 v5, v11, v10, s[2:3]
	v_lshl_add_u64 v[10:11], v[8:9], 0, 2
	v_cmp_ne_u32_e64 s[2:3], 0, v5
	s_nop 1
	v_cndmask_b32_e64 v5, v13, v11, s[2:3]
	v_cndmask_b32_e64 v11, 0, -1, vcc
	v_cmp_le_u32_e32 vcc, s18, v14
	s_nop 1
	v_cndmask_b32_e64 v13, 0, -1, vcc
	v_cmp_eq_u32_e32 vcc, s19, v1
	s_nop 1
	v_cndmask_b32_e32 v1, v11, v13, vcc
	v_cmp_ne_u32_e32 vcc, 0, v1
	v_cndmask_b32_e64 v1, v12, v10, s[2:3]
	s_nop 0
	v_cndmask_b32_e32 v9, v9, v5, vcc
	v_cndmask_b32_e32 v8, v8, v1, vcc
.LBB0_4:                                ;   in Loop: Header=BB0_2 Depth=1
	s_andn2_saveexec_b64 s[2:3], s[20:21]
	s_cbranch_execz .LBB0_6
; %bb.5:                                ;   in Loop: Header=BB0_2 Depth=1
	v_cvt_f32_u32_e32 v1, s18
	s_sub_i32 s20, 0, s18
	v_rcp_iflag_f32_e32 v1, v1
	s_nop 0
	v_mul_f32_e32 v1, 0x4f7ffffe, v1
	v_cvt_u32_f32_e32 v1, v1
	v_mul_lo_u32 v5, s20, v1
	v_mul_hi_u32 v5, v1, v5
	v_add_u32_e32 v1, v1, v5
	v_mul_hi_u32 v1, v6, v1
	v_mul_lo_u32 v5, v1, s18
	v_sub_u32_e32 v5, v6, v5
	v_add_u32_e32 v8, 1, v1
	v_subrev_u32_e32 v9, s18, v5
	v_cmp_le_u32_e32 vcc, s18, v5
	s_nop 1
	v_cndmask_b32_e32 v5, v5, v9, vcc
	v_cndmask_b32_e32 v1, v1, v8, vcc
	v_add_u32_e32 v8, 1, v1
	v_cmp_le_u32_e32 vcc, s18, v5
	v_mov_b32_e32 v9, v4
	s_nop 0
	v_cndmask_b32_e32 v8, v1, v8, vcc
.LBB0_6:                                ;   in Loop: Header=BB0_2 Depth=1
	s_or_b64 exec, exec, s[2:3]
	v_mad_u64_u32 v[10:11], s[2:3], v8, s18, 0
	s_load_dwordx2 s[2:3], s[12:13], 0x0
	v_mul_lo_u32 v1, v9, s18
	v_mul_lo_u32 v5, v8, s19
	v_add3_u32 v1, v11, v5, v1
	v_sub_co_u32_e32 v5, vcc, v6, v10
	s_add_u32 s14, s14, 1
	s_nop 0
	v_subb_co_u32_e32 v1, vcc, v7, v1, vcc
	s_addc_u32 s15, s15, 0
	s_waitcnt lgkmcnt(0)
	v_mul_lo_u32 v1, s2, v1
	v_mul_lo_u32 v6, s3, v5
	v_mad_u64_u32 v[2:3], s[2:3], s2, v5, v[2:3]
	s_add_u32 s12, s12, 8
	v_add3_u32 v3, v6, v3, v1
	s_addc_u32 s13, s13, 0
	v_mov_b64_e32 v[6:7], s[6:7]
	s_add_u32 s16, s16, 8
	v_cmp_ge_u64_e32 vcc, s[14:15], v[6:7]
	s_addc_u32 s17, s17, 0
	s_cbranch_vccnz .LBB0_9
; %bb.7:                                ;   in Loop: Header=BB0_2 Depth=1
	v_mov_b64_e32 v[6:7], v[8:9]
	s_branch .LBB0_2
.LBB0_8:
	v_mov_b64_e32 v[8:9], v[6:7]
.LBB0_9:
	s_lshl_b64 s[2:3], s[6:7], 3
	s_add_u32 s2, s10, s2
	s_addc_u32 s3, s11, s3
	s_load_dwordx2 s[6:7], s[2:3], 0x0
	s_load_dwordx2 s[10:11], s[0:1], 0x20
	s_mov_b32 s2, 0x4104105
                                        ; implicit-def: $vgpr20
                                        ; implicit-def: $vgpr18
                                        ; implicit-def: $vgpr10
                                        ; implicit-def: $vgpr12
                                        ; implicit-def: $vgpr14
                                        ; implicit-def: $vgpr6
                                        ; implicit-def: $vgpr16
	s_waitcnt lgkmcnt(0)
	v_mul_lo_u32 v1, s6, v9
	v_mul_lo_u32 v4, s7, v8
	v_mad_u64_u32 v[2:3], s[0:1], s6, v8, v[2:3]
	v_add3_u32 v3, v4, v3, v1
	v_mul_hi_u32 v1, v0, s2
	v_mul_u32_u24_e32 v1, 63, v1
	v_sub_u32_e32 v0, v0, v1
	v_cmp_gt_u64_e64 s[0:1], s[10:11], v[8:9]
	v_cmp_le_u64_e32 vcc, s[10:11], v[8:9]
	v_add_u32_e32 v4, 63, v0
                                        ; implicit-def: $vgpr8_vgpr9
	s_and_saveexec_b64 s[2:3], vcc
	s_xor_b64 s[2:3], exec, s[2:3]
; %bb.10:
	v_add_u32_e32 v9, 0x13b, v0
	v_add_u32_e32 v4, 63, v0
	;; [unrolled: 1-line block ×9, first 2 shown]
	v_mov_b32_e32 v16, v9
; %bb.11:
	s_or_saveexec_b64 s[2:3], s[2:3]
	v_lshl_add_u64 v[2:3], v[2:3], 2, s[8:9]
	s_xor_b64 exec, exec, s[2:3]
	s_cbranch_execz .LBB0_13
; %bb.12:
	v_mov_b32_e32 v1, 0
	v_add_u32_e32 v9, 0x13b, v0
	v_add_u32_e32 v8, 0xfc, v0
	v_mov_b32_e32 v12, v9
	v_mov_b32_e32 v13, v1
	v_lshl_add_u64 v[6:7], v[0:1], 2, v[2:3]
	v_mov_b32_e32 v10, v8
	v_mov_b32_e32 v11, v1
	v_lshl_add_u64 v[12:13], v[12:13], 2, v[2:3]
	v_lshl_add_u64 v[10:11], v[10:11], 2, v[2:3]
	global_load_dword v1, v[12:13], off
	global_load_dword v5, v[6:7], off
	global_load_dword v15, v[6:7], off offset:252
	global_load_dword v16, v[6:7], off offset:504
	;; [unrolled: 1-line block ×13, first 2 shown]
                                        ; kill: killed $vgpr12_vgpr13
	global_load_dword v13, v[10:11], off
	global_load_dword v30, v[6:7], off offset:4032
	v_add_co_u32_e32 v6, vcc, 0x1000, v6
	v_add_u32_e32 v20, 0x7e, v0
	s_nop 0
	v_addc_co_u32_e32 v7, vcc, 0, v7, vcc
	global_load_dword v11, v[6:7], off offset:188
	global_load_dword v31, v[6:7], off offset:440
	;; [unrolled: 1-line block ×3, first 2 shown]
	v_lshl_add_u32 v7, v0, 2, 0
	v_add_u32_e32 v18, 0xbd, v0
	v_add_u32_e32 v10, 0x17a, v0
	v_add_u32_e32 v12, 0x1b9, v0
	v_add_u32_e32 v14, 0x1f8, v0
	v_add_u32_e32 v6, 0x237, v0
	v_lshl_add_u32 v33, v8, 2, 0
	v_lshl_add_u32 v34, v9, 2, 0
	v_add_u32_e32 v35, 0x400, v7
	v_add_u32_e32 v36, 0x600, v7
	;; [unrolled: 1-line block ×7, first 2 shown]
	s_waitcnt vmcnt(17)
	ds_write2_b32 v7, v5, v15 offset1:63
	s_waitcnt vmcnt(15)
	ds_write2_b32 v7, v16, v17 offset0:126 offset1:189
	s_waitcnt vmcnt(9)
	ds_write2_b32 v37, v24, v25 offset0:118 offset1:181
	;; [unrolled: 2-line block ×4, first 2 shown]
	s_waitcnt vmcnt(4)
	ds_write_b32 v33, v13
	ds_write_b32 v34, v1
	ds_write2_b32 v35, v19, v21 offset0:122 offset1:185
	ds_write2_b32 v36, v22, v23 offset0:120 offset1:183
	s_waitcnt vmcnt(2)
	ds_write2_b32 v40, v30, v11 offset0:112 offset1:175
	s_waitcnt vmcnt(0)
	ds_write2_b32 v41, v31, v32 offset0:110 offset1:173
	v_mov_b32_e32 v16, v9
.LBB0_13:
	s_or_b64 exec, exec, s[2:3]
	v_lshlrev_b32_e32 v1, 2, v0
	v_add_u32_e32 v42, 0, v1
	v_add_u32_e32 v7, 0x600, v42
	;; [unrolled: 1-line block ×3, first 2 shown]
	s_waitcnt lgkmcnt(0)
	; wave barrier
	s_waitcnt lgkmcnt(0)
	ds_read2_b32 v[22:23], v7 offset0:120 offset1:183
	ds_read2_b32 v[24:25], v35 offset0:110 offset1:173
	v_add_u32_e32 v26, 0x200, v42
	v_add_u32_e32 v38, 0xc00, v42
	;; [unrolled: 1-line block ×4, first 2 shown]
	s_waitcnt lgkmcnt(0)
	v_pk_add_f16 v7, v23, v25 neg_lo:[0,1] neg_hi:[0,1]
	v_pk_add_f16 v31, v22, v24 neg_lo:[0,1] neg_hi:[0,1]
	ds_read2_b32 v[26:27], v26 offset0:124 offset1:187
	ds_read2_b32 v[28:29], v38 offset0:114 offset1:177
	v_pk_fma_f16 v30, v23, 2.0, v7 op_sel_hi:[1,0,1] neg_lo:[0,0,1] neg_hi:[0,0,1]
	v_pk_fma_f16 v32, v22, 2.0, v31 op_sel_hi:[1,0,1] neg_lo:[0,0,1] neg_hi:[0,0,1]
	ds_read2_b32 v[22:23], v33 offset0:122 offset1:185
	ds_read2_b32 v[24:25], v37 offset0:112 offset1:175
	s_waitcnt lgkmcnt(2)
	v_pk_add_f16 v41, v27, v29 neg_lo:[0,1] neg_hi:[0,1]
	v_pk_add_f16 v47, v26, v28 neg_lo:[0,1] neg_hi:[0,1]
	v_add_u32_e32 v50, 0x800, v42
	v_pk_fma_f16 v46, v27, 2.0, v41 op_sel_hi:[1,0,1] neg_lo:[0,0,1] neg_hi:[0,0,1]
	s_waitcnt lgkmcnt(0)
	v_pk_add_f16 v34, v23, v25 neg_lo:[0,1] neg_hi:[0,1]
	v_pk_add_f16 v39, v22, v24 neg_lo:[0,1] neg_hi:[0,1]
	v_add_u32_e32 v48, 0xa00, v42
	v_pk_fma_f16 v49, v26, 2.0, v47 op_sel_hi:[1,0,1] neg_lo:[0,0,1] neg_hi:[0,0,1]
	ds_read2_b32 v[26:27], v42 offset1:63
	ds_read2_b32 v[28:29], v50 offset0:118 offset1:181
	v_pk_fma_f16 v36, v23, 2.0, v34 op_sel_hi:[1,0,1] neg_lo:[0,0,1] neg_hi:[0,0,1]
	v_pk_fma_f16 v40, v22, 2.0, v39 op_sel_hi:[1,0,1] neg_lo:[0,0,1] neg_hi:[0,0,1]
	ds_read2_b32 v[22:23], v42 offset0:126 offset1:189
	ds_read2_b32 v[24:25], v48 offset0:116 offset1:179
	s_waitcnt lgkmcnt(2)
	v_pk_add_f16 v28, v26, v28 neg_lo:[0,1] neg_hi:[0,1]
	v_add_u32_e32 v5, v42, v1
	v_pk_add_f16 v29, v27, v29 neg_lo:[0,1] neg_hi:[0,1]
	v_pk_fma_f16 v26, v26, 2.0, v28 op_sel_hi:[1,0,1] neg_lo:[0,0,1] neg_hi:[0,0,1]
	s_waitcnt lgkmcnt(0)
	v_pk_add_f16 v25, v23, v25 neg_lo:[0,1] neg_hi:[0,1]
	v_pk_add_f16 v24, v22, v24 neg_lo:[0,1] neg_hi:[0,1]
	v_lshl_add_u32 v19, v4, 3, 0
	v_lshl_add_u32 v21, v20, 3, 0
	;; [unrolled: 1-line block ×9, first 2 shown]
	v_pk_fma_f16 v23, v23, 2.0, v25 op_sel_hi:[1,0,1] neg_lo:[0,0,1] neg_hi:[0,0,1]
	v_pk_fma_f16 v22, v22, 2.0, v24 op_sel_hi:[1,0,1] neg_lo:[0,0,1] neg_hi:[0,0,1]
	;; [unrolled: 1-line block ×3, first 2 shown]
	s_waitcnt lgkmcnt(0)
	; wave barrier
	ds_write2_b32 v5, v26, v28 offset1:1
	ds_write2_b32 v19, v27, v29 offset1:1
	;; [unrolled: 1-line block ×10, first 2 shown]
	v_and_b32_e32 v28, 1, v12
	v_and_b32_e32 v29, 1, v6
	v_lshlrev_b32_e32 v5, 2, v28
	v_lshlrev_b32_e32 v7, 2, v29
	v_and_b32_e32 v32, 1, v18
	s_waitcnt lgkmcnt(0)
	; wave barrier
	s_waitcnt lgkmcnt(0)
	global_load_dword v30, v7, s[4:5]
	global_load_dword v31, v5, s[4:5]
	v_lshlrev_b32_e32 v5, 2, v32
	v_and_b32_e32 v36, 1, v0
	global_load_dword v5, v5, s[4:5]
	v_lshlrev_b32_e32 v7, 2, v36
	global_load_dword v7, v7, s[4:5]
	v_and_b32_e32 v39, 1, v16
	v_lshlrev_b32_e32 v22, 2, v39
	global_load_dword v34, v22, s[4:5]
	v_and_b32_e32 v40, 1, v4
	v_lshlrev_b32_e32 v22, 2, v40
	global_load_dword v41, v22, s[4:5]
	ds_read2_b32 v[22:23], v35 offset0:110 offset1:173
	ds_read2_b32 v[24:25], v37 offset0:112 offset1:175
	;; [unrolled: 1-line block ×3, first 2 shown]
	s_mov_b32 s2, 0xffff
	s_movk_i32 s3, 0x7c
	v_lshlrev_b32_e32 v62, 2, v10
	v_sub_u32_e32 v63, v45, v62
	v_lshlrev_b32_e32 v52, 2, v8
	v_lshlrev_b32_e32 v54, 2, v16
	v_sub_u32_e32 v71, v17, v52
	v_sub_u32_e32 v72, v13, v54
	s_movk_i32 s6, 0x2fc
	v_cmp_gt_u32_e32 vcc, 42, v0
	s_waitcnt vmcnt(5) lgkmcnt(2)
	v_pk_mul_f16 v46, v23, v30 op_sel:[1,0]
	s_waitcnt vmcnt(4) lgkmcnt(1)
	v_pk_mul_f16 v47, v25, v31 op_sel:[0,1]
	v_pk_fma_f16 v48, v23, v30, v46 op_sel:[0,0,1] op_sel_hi:[0,1,0] neg_lo:[1,0,0] neg_hi:[1,0,0]
	v_pk_fma_f16 v30, v23, v30, v46 op_sel:[0,0,1] op_sel_hi:[0,1,0]
	s_waitcnt vmcnt(3) lgkmcnt(0)
	v_pk_mul_f16 v23, v5, v27 op_sel:[0,1]
	v_pk_fma_f16 v49, v25, v31, v47 op_sel:[0,0,1] op_sel_hi:[1,1,0]
	v_pk_fma_f16 v25, v25, v31, v47 op_sel:[0,0,1] op_sel_hi:[1,0,0] neg_lo:[0,0,1] neg_hi:[0,0,1]
	v_pk_fma_f16 v31, v5, v27, v23 op_sel:[0,0,1] op_sel_hi:[1,1,0]
	v_pk_fma_f16 v51, v5, v27, v23 op_sel:[0,0,1] op_sel_hi:[1,0,0] neg_lo:[1,0,0] neg_hi:[1,0,0]
	s_waitcnt vmcnt(2)
	v_pk_mul_f16 v5, v7, v26 op_sel:[0,1]
	v_lshlrev_b32_e32 v47, 2, v18
	v_pk_fma_f16 v53, v7, v26, v5 op_sel:[0,0,1] op_sel_hi:[1,1,0]
	v_pk_fma_f16 v55, v7, v26, v5 op_sel:[0,0,1] op_sel_hi:[1,0,0] neg_lo:[1,0,0] neg_hi:[1,0,0]
	ds_read2_b32 v[26:27], v38 offset0:114 offset1:177
	v_pk_mul_f16 v5, v22, v7 op_sel:[0,1]
	v_sub_u32_e32 v70, v15, v47
	v_pk_fma_f16 v56, v22, v7, v5 op_sel:[0,0,1] op_sel_hi:[1,1,0]
	v_pk_fma_f16 v57, v22, v7, v5 op_sel:[0,0,1] op_sel_hi:[1,0,0] neg_lo:[0,0,1] neg_hi:[0,0,1]
	ds_read2_b32 v[22:23], v50 offset0:118 offset1:181
	v_pk_mul_f16 v5, v24, v7 op_sel:[0,1]
	v_bfi_b32 v25, s2, v49, v25
	v_pk_fma_f16 v58, v24, v7, v5 op_sel:[0,0,1] op_sel_hi:[1,1,0]
	v_pk_fma_f16 v24, v24, v7, v5 op_sel:[0,0,1] op_sel_hi:[1,0,0] neg_lo:[0,0,1] neg_hi:[0,0,1]
	s_waitcnt vmcnt(1) lgkmcnt(1)
	v_pk_mul_f16 v5, v27, v34 op_sel:[0,1]
	s_nop 0
	v_pk_fma_f16 v59, v27, v34, v5 op_sel:[0,0,1] op_sel_hi:[1,1,0]
	v_pk_fma_f16 v27, v27, v34, v5 op_sel:[0,0,1] op_sel_hi:[1,0,0] neg_lo:[0,0,1] neg_hi:[0,0,1]
	v_pk_mul_f16 v5, v26, v7 op_sel:[0,1]
	s_nop 0
	v_pk_fma_f16 v60, v26, v7, v5 op_sel:[0,0,1] op_sel_hi:[1,1,0]
	v_pk_fma_f16 v26, v26, v7, v5 op_sel:[0,0,1] op_sel_hi:[1,0,0] neg_lo:[0,0,1] neg_hi:[0,0,1]
	s_waitcnt vmcnt(0) lgkmcnt(0)
	v_pk_mul_f16 v5, v41, v23 op_sel:[0,1]
	s_nop 0
	v_pk_fma_f16 v61, v41, v23, v5 op_sel:[0,0,1] op_sel_hi:[1,1,0]
	v_pk_fma_f16 v23, v41, v23, v5 op_sel:[0,0,1] op_sel_hi:[1,0,0] neg_lo:[1,0,0] neg_hi:[1,0,0]
	v_pk_mul_f16 v5, v7, v22 op_sel:[0,1]
	v_bfi_b32 v23, s2, v61, v23
	v_pk_fma_f16 v34, v7, v22, v5 op_sel:[0,0,1] op_sel_hi:[1,1,0]
	v_pk_fma_f16 v5, v7, v22, v5 op_sel:[0,0,1] op_sel_hi:[1,0,0] neg_lo:[1,0,0] neg_hi:[1,0,0]
	s_nop 0
	v_bfi_b32 v22, s2, v34, v5
	v_lshlrev_b32_e32 v5, 2, v12
	v_sub_u32_e32 v7, v44, v5
	v_lshlrev_b32_e32 v34, 2, v14
	ds_read_b32 v64, v7
	v_sub_u32_e32 v41, v11, v34
	v_lshlrev_b32_e32 v7, 2, v6
	v_sub_u32_e32 v46, v43, v7
	ds_read_b32 v65, v41
	ds_read_b32 v66, v46
	v_lshlrev_b32_e32 v41, 1, v0
	v_and_or_b32 v41, v41, s3, v36
	v_lshl_add_u32 v67, v41, 2, 0
	v_lshlrev_b32_e32 v41, 2, v4
	v_lshlrev_b32_e32 v46, 2, v20
	v_sub_u32_e32 v68, v19, v41
	v_sub_u32_e32 v69, v21, v46
	ds_read_b32 v73, v42
	ds_read_b32 v74, v68
	;; [unrolled: 1-line block ×7, first 2 shown]
	s_waitcnt lgkmcnt(6)
	v_pk_add_f16 v22, v73, v22 neg_lo:[0,1] neg_hi:[0,1]
	s_waitcnt lgkmcnt(0)
	v_pk_fma_f16 v73, v73, 2.0, v22 op_sel_hi:[1,0,1] neg_lo:[0,0,1] neg_hi:[0,0,1]
	; wave barrier
	ds_write2_b32 v67, v73, v22 offset1:2
	s_movk_i32 s3, 0xfc
	v_lshlrev_b32_e32 v22, 1, v4
	v_and_or_b32 v22, v22, s3, v40
	v_pk_add_f16 v23, v74, v23 neg_lo:[0,1] neg_hi:[0,1]
	v_lshl_add_u32 v22, v22, 2, 0
	v_pk_fma_f16 v40, v74, 2.0, v23 op_sel_hi:[1,0,1] neg_lo:[0,0,1] neg_hi:[0,0,1]
	ds_write2_b32 v22, v40, v23 offset1:2
	v_bfi_b32 v22, s2, v53, v55
	s_movk_i32 s3, 0x1fc
	v_lshlrev_b32_e32 v23, 1, v20
	v_and_or_b32 v23, v23, s3, v36
	v_pk_add_f16 v22, v75, v22 neg_lo:[0,1] neg_hi:[0,1]
	v_lshl_add_u32 v23, v23, 2, 0
	v_pk_fma_f16 v40, v75, 2.0, v22 op_sel_hi:[1,0,1] neg_lo:[0,0,1] neg_hi:[0,0,1]
	ds_write2_b32 v23, v40, v22 offset1:2
	v_lshlrev_b32_e32 v22, 1, v18
	v_bfi_b32 v23, s2, v31, v51
	v_and_or_b32 v22, v22, s3, v32
	v_pk_add_f16 v23, v76, v23 neg_lo:[0,1] neg_hi:[0,1]
	v_lshl_add_u32 v22, v22, 2, 0
	v_pk_fma_f16 v31, v76, 2.0, v23 op_sel_hi:[1,0,1] neg_lo:[0,0,1] neg_hi:[0,0,1]
	ds_write2_b32 v22, v31, v23 offset1:2
	v_bfi_b32 v22, s2, v60, v26
	s_movk_i32 s3, 0x3fc
	v_lshlrev_b32_e32 v23, 1, v8
	v_and_or_b32 v23, v23, s3, v36
	v_pk_add_f16 v22, v77, v22 neg_lo:[0,1] neg_hi:[0,1]
	v_lshl_add_u32 v23, v23, 2, 0
	v_pk_fma_f16 v26, v77, 2.0, v22 op_sel_hi:[1,0,1] neg_lo:[0,0,1] neg_hi:[0,0,1]
	ds_write2_b32 v23, v26, v22 offset1:2
	v_lshlrev_b32_e32 v22, 1, v16
	v_bfi_b32 v23, s2, v59, v27
	v_and_or_b32 v22, v22, s6, v39
	v_pk_add_f16 v23, v78, v23 neg_lo:[0,1] neg_hi:[0,1]
	v_lshl_add_u32 v22, v22, 2, 0
	v_pk_fma_f16 v26, v78, 2.0, v23 op_sel_hi:[1,0,1] neg_lo:[0,0,1] neg_hi:[0,0,1]
	ds_write2_b32 v22, v26, v23 offset1:2
	v_bfi_b32 v22, s2, v58, v24
	v_lshlrev_b32_e32 v23, 1, v10
	v_and_or_b32 v23, v23, s3, v36
	v_pk_add_f16 v22, v63, v22 neg_lo:[0,1] neg_hi:[0,1]
	v_lshl_add_u32 v23, v23, 2, 0
	v_pk_fma_f16 v24, v63, 2.0, v22 op_sel_hi:[1,0,1] neg_lo:[0,0,1] neg_hi:[0,0,1]
	ds_write2_b32 v23, v24, v22 offset1:2
	v_lshlrev_b32_e32 v23, 1, v12
	v_and_or_b32 v23, v23, s3, v28
	s_movk_i32 s3, 0x7fc
	v_lshlrev_b32_e32 v24, 1, v14
	v_bfi_b32 v22, s2, v30, v48
	v_and_or_b32 v24, v24, s3, v36
	v_bfi_b32 v26, s2, v56, v57
	v_pk_add_f16 v40, v66, v22 neg_lo:[0,1] neg_hi:[0,1]
	v_lshl_add_u32 v22, v23, 2, 0
	v_lshl_add_u32 v23, v24, 2, 0
	v_pk_add_f16 v24, v64, v25 neg_lo:[0,1] neg_hi:[0,1]
	v_lshlrev_b32_e32 v27, 1, v6
	v_pk_fma_f16 v25, v64, 2.0, v24 op_sel_hi:[1,0,1] neg_lo:[0,0,1] neg_hi:[0,0,1]
	v_pk_add_f16 v26, v65, v26 neg_lo:[0,1] neg_hi:[0,1]
	s_movk_i32 s2, 0x4fc
	v_pk_fma_f16 v28, v65, 2.0, v26 op_sel_hi:[1,0,1] neg_lo:[0,0,1] neg_hi:[0,0,1]
	ds_write2_b32 v22, v25, v24 offset1:2
	ds_write2_b32 v23, v28, v26 offset1:2
	v_and_or_b32 v22, v27, s2, v29
	v_pk_fma_f16 v36, v66, 2.0, v40 op_sel_hi:[1,0,1] neg_lo:[0,0,1] neg_hi:[0,0,1]
	v_lshl_add_u32 v22, v22, 2, 0
	ds_write2_b32 v22, v36, v40 offset1:2
	s_waitcnt lgkmcnt(0)
	; wave barrier
	s_waitcnt lgkmcnt(0)
	ds_read2_b32 v[24:25], v33 offset0:164 offset1:227
	ds_read2_b32 v[22:23], v38 offset0:72 offset1:135
	;; [unrolled: 1-line block ×6, first 2 shown]
	ds_read_b32 v53, v42
	ds_read_b32 v51, v68
	ds_read_b32 v39, v69
	ds_read_b32 v38, v70
	ds_read_b32 v37, v71
	ds_read_b32 v35, v72
	v_sub_u32_e32 v48, 0, v62
	v_add_u32_e32 v45, v45, v48
	v_lshrrev_b32_e32 v56, 16, v40
                                        ; implicit-def: $vgpr57
                                        ; implicit-def: $vgpr55
	s_and_saveexec_b64 s[2:3], vcc
	s_cbranch_execz .LBB0_15
; %bb.14:
	ds_read_b32 v40, v42 offset:3192
	ds_read_b32 v55, v42 offset:4872
	ds_read_b32 v36, v45
	s_waitcnt lgkmcnt(2)
	v_lshrrev_b32_e32 v56, 16, v40
	s_waitcnt lgkmcnt(1)
	v_lshrrev_b32_e32 v57, 16, v55
.LBB0_15:
	s_or_b64 exec, exec, s[2:3]
	v_and_b32_e32 v70, 3, v20
	v_lshlrev_b32_e32 v48, 3, v70
	v_and_b32_e32 v71, 3, v18
	global_load_dwordx2 v[58:59], v48, s[4:5] offset:8
	v_lshlrev_b32_e32 v48, 3, v71
	v_and_b32_e32 v72, 3, v0
	global_load_dwordx2 v[60:61], v48, s[4:5] offset:8
	v_and_b32_e32 v73, 3, v4
	v_lshlrev_b32_e32 v48, 3, v72
	global_load_dwordx2 v[62:63], v48, s[4:5] offset:8
	v_lshlrev_b32_e32 v48, 3, v73
	v_and_b32_e32 v74, 3, v16
	global_load_dwordx2 v[64:65], v48, s[4:5] offset:8
	v_lshlrev_b32_e32 v48, 3, v74
	v_and_b32_e32 v50, 3, v10
	global_load_dwordx2 v[66:67], v48, s[4:5] offset:8
	v_lshlrev_b32_e32 v48, 3, v50
	global_load_dwordx2 v[68:69], v48, s[4:5] offset:8
	s_waitcnt lgkmcnt(7)
	v_lshrrev_b32_e32 v79, 16, v28
	v_lshrrev_b32_e32 v82, 16, v29
	;; [unrolled: 1-line block ×8, first 2 shown]
	s_waitcnt lgkmcnt(6)
	v_lshrrev_b32_e32 v80, 16, v26
	v_lshrrev_b32_e32 v88, 16, v22
	;; [unrolled: 1-line block ×4, first 2 shown]
	v_sub_u32_e32 v48, 0, v46
	v_sub_u32_e32 v46, 0, v52
	s_waitcnt lgkmcnt(5)
	v_lshrrev_b32_e32 v52, 16, v53
	s_mov_b32 s2, 0xbaee
	s_movk_i32 s3, 0x3aee
	v_sub_u32_e32 v49, 0, v41
	v_sub_u32_e32 v41, 0, v54
	s_waitcnt lgkmcnt(4)
	v_lshrrev_b32_e32 v54, 16, v51
	s_waitcnt lgkmcnt(3)
	v_lshrrev_b32_e32 v75, 16, v39
	;; [unrolled: 2-line block ×5, first 2 shown]
	s_waitcnt lgkmcnt(0)
	; wave barrier
	v_sub_u32_e32 v47, 0, v47
	s_waitcnt vmcnt(5)
	v_mul_f16_sdwa v91, v58, v85 dst_sel:DWORD dst_unused:UNUSED_PAD src0_sel:WORD_1 src1_sel:DWORD
	v_mul_f16_sdwa v92, v58, v30 dst_sel:DWORD dst_unused:UNUSED_PAD src0_sel:WORD_1 src1_sel:DWORD
	;; [unrolled: 1-line block ×4, first 2 shown]
	s_waitcnt vmcnt(4)
	v_mul_f16_sdwa v95, v60, v87 dst_sel:DWORD dst_unused:UNUSED_PAD src0_sel:WORD_1 src1_sel:DWORD
	v_mul_f16_sdwa v96, v60, v31 dst_sel:DWORD dst_unused:UNUSED_PAD src0_sel:WORD_1 src1_sel:DWORD
	v_mul_f16_sdwa v98, v33, v61 dst_sel:DWORD dst_unused:UNUSED_PAD src0_sel:DWORD src1_sel:WORD_1
	s_waitcnt vmcnt(3)
	v_mul_f16_sdwa v99, v62, v84 dst_sel:DWORD dst_unused:UNUSED_PAD src0_sel:WORD_1 src1_sel:DWORD
	v_mul_f16_sdwa v100, v62, v24 dst_sel:DWORD dst_unused:UNUSED_PAD src0_sel:WORD_1 src1_sel:DWORD
	s_waitcnt vmcnt(2)
	v_mul_f16_sdwa v101, v64, v89 dst_sel:DWORD dst_unused:UNUSED_PAD src0_sel:WORD_1 src1_sel:DWORD
	v_mul_f16_sdwa v102, v64, v25 dst_sel:DWORD dst_unused:UNUSED_PAD src0_sel:WORD_1 src1_sel:DWORD
	v_mul_f16_sdwa v107, v79, v62 dst_sel:DWORD dst_unused:UNUSED_PAD src0_sel:DWORD src1_sel:WORD_1
	v_mul_f16_sdwa v108, v28, v62 dst_sel:DWORD dst_unused:UNUSED_PAD src0_sel:DWORD src1_sel:WORD_1
	s_waitcnt vmcnt(1)
	v_mul_f16_sdwa v111, v82, v66 dst_sel:DWORD dst_unused:UNUSED_PAD src0_sel:DWORD src1_sel:WORD_1
	v_mul_f16_sdwa v112, v29, v66 dst_sel:DWORD dst_unused:UNUSED_PAD src0_sel:DWORD src1_sel:WORD_1
	;; [unrolled: 1-line block ×3, first 2 shown]
	v_mul_f16_sdwa v103, v65, v23 dst_sel:DWORD dst_unused:UNUSED_PAD src0_sel:WORD_1 src1_sel:DWORD
	v_mul_f16_sdwa v104, v65, v90 dst_sel:DWORD dst_unused:UNUSED_PAD src0_sel:WORD_1 src1_sel:DWORD
	;; [unrolled: 1-line block ×4, first 2 shown]
	v_mul_f16_sdwa v109, v80, v63 dst_sel:DWORD dst_unused:UNUSED_PAD src0_sel:DWORD src1_sel:WORD_1
	v_mul_f16_sdwa v110, v26, v63 dst_sel:DWORD dst_unused:UNUSED_PAD src0_sel:DWORD src1_sel:WORD_1
	v_fma_f16 v85, v58, v85, -v92
	v_fma_f16 v86, v59, v86, -v93
	v_fma_f16 v30, v58, v30, v91
	v_fma_f16 v32, v59, v32, v94
	;; [unrolled: 1-line block ×3, first 2 shown]
	v_fma_f16 v58, v60, v87, -v96
	v_fma_f16 v59, v77, v61, -v98
	v_fma_f16 v24, v62, v24, v99
	v_fma_f16 v25, v64, v25, v101
	v_fma_f16 v60, v64, v89, -v102
	v_fma_f16 v64, v62, v84, -v100
	;; [unrolled: 1-line block ×3, first 2 shown]
	v_fma_f16 v28, v28, v62, v107
	v_fma_f16 v29, v29, v66, v111
	v_fma_f16 v62, v82, v66, -v112
	s_waitcnt vmcnt(0)
	v_mul_f16_sdwa v66, v56, v68 dst_sel:DWORD dst_unused:UNUSED_PAD src0_sel:DWORD src1_sel:WORD_1
	v_fma_f16 v33, v33, v61, v97
	v_fma_f16 v61, v65, v90, -v103
	v_fma_f16 v23, v65, v23, v104
	v_fma_f16 v22, v63, v22, v105
	v_fma_f16 v65, v63, v88, -v106
	v_fma_f16 v79, v80, v63, -v110
	v_fma_f16 v26, v26, v63, v109
	v_mul_f16_sdwa v63, v83, v67 dst_sel:DWORD dst_unused:UNUSED_PAD src0_sel:DWORD src1_sel:WORD_1
	v_fma_f16 v66, v40, v68, v66
	v_mul_f16_sdwa v40, v40, v68 dst_sel:DWORD dst_unused:UNUSED_PAD src0_sel:DWORD src1_sel:WORD_1
	;; [unrolled: 2-line block ×3, first 2 shown]
	v_fma_f16 v40, v56, v68, -v40
	v_mul_f16_sdwa v56, v57, v69 dst_sel:DWORD dst_unused:UNUSED_PAD src0_sel:DWORD src1_sel:WORD_1
	v_fma_f16 v27, v83, v67, -v27
	v_fma_f16 v56, v55, v69, v56
	v_mul_f16_sdwa v55, v55, v69 dst_sel:DWORD dst_unused:UNUSED_PAD src0_sel:DWORD src1_sel:WORD_1
	v_add_f16_e32 v67, v24, v22
	v_fma_f16 v55, v57, v69, -v55
	v_add_f16_e32 v57, v53, v24
	v_fma_f16 v53, v67, -0.5, v53
	v_sub_f16_e32 v67, v64, v65
	v_fma_f16 v68, v67, s2, v53
	v_fma_f16 v53, v67, s3, v53
	v_add_f16_e32 v67, v52, v64
	v_add_f16_e32 v64, v64, v65
	v_add_f16_e32 v57, v57, v22
	v_fma_f16 v52, v64, -0.5, v52
	v_sub_f16_e32 v22, v24, v22
	v_add_f16_e32 v64, v25, v23
	v_fma_f16 v24, v22, s3, v52
	v_fma_f16 v22, v22, s2, v52
	v_add_f16_e32 v52, v51, v25
	v_fma_f16 v51, v64, -0.5, v51
	v_sub_f16_e32 v64, v60, v61
	v_add_f16_e32 v67, v67, v65
	v_fma_f16 v65, v64, s2, v51
	v_fma_f16 v51, v64, s3, v51
	v_add_f16_e32 v64, v54, v60
	v_add_f16_e32 v60, v60, v61
	;; [unrolled: 1-line block ×3, first 2 shown]
	v_fma_f16 v54, v60, -0.5, v54
	v_sub_f16_e32 v23, v25, v23
	v_add_f16_e32 v60, v30, v32
	v_fma_f16 v25, v23, s3, v54
	v_fma_f16 v23, v23, s2, v54
	v_add_f16_e32 v54, v39, v30
	v_fma_f16 v39, v60, -0.5, v39
	v_sub_f16_e32 v60, v85, v86
	v_add_f16_e32 v64, v64, v61
	v_fma_f16 v61, v60, s2, v39
	v_fma_f16 v60, v60, s3, v39
	v_add_f16_e32 v39, v75, v85
	v_add_f16_e32 v69, v39, v86
	;; [unrolled: 1-line block ×3, first 2 shown]
	v_fma_f16 v39, v39, -0.5, v75
	v_sub_f16_e32 v30, v30, v32
	v_add_f16_e32 v54, v54, v32
	v_fma_f16 v32, v30, s3, v39
	v_fma_f16 v30, v30, s2, v39
	v_add_f16_e32 v39, v38, v31
	v_add_f16_e32 v75, v39, v33
	v_add_f16_e32 v39, v31, v33
	v_fma_f16 v38, v39, -0.5, v38
	v_sub_f16_e32 v39, v58, v59
	v_fma_f16 v80, v39, s2, v38
	v_fma_f16 v82, v39, s3, v38
	v_add_f16_e32 v38, v76, v58
	v_add_f16_e32 v83, v38, v59
	v_add_f16_e32 v38, v58, v59
	v_fma_f16 v38, v38, -0.5, v76
	v_sub_f16_e32 v31, v31, v33
	;; [unrolled: 7-line block ×7, first 2 shown]
	v_fma_f16 v37, v38, s2, v29
	v_fma_f16 v38, v38, s3, v29
	v_lshrrev_b32_e32 v29, 16, v36
	v_add_f16_e32 v39, v40, v55
	v_add_f16_e32 v36, v29, v40
	v_fma_f16 v29, v39, -0.5, v29
	v_sub_f16_e32 v39, v66, v56
	v_fma_f16 v40, v39, s3, v29
	v_fma_f16 v39, v39, s2, v29
	v_lshrrev_b32_e32 v29, 2, v0
	v_mul_u32_u24_e32 v29, 12, v29
	v_or_b32_e32 v29, v29, v72
	v_lshl_add_u32 v29, v29, 2, 0
	v_pack_b32_f16 v22, v53, v22
	ds_write_b32 v29, v22 offset:32
	v_lshrrev_b32_e32 v22, 2, v4
	v_mul_lo_u32 v22, v22, 12
	v_add_f16_e32 v36, v36, v55
	v_pack_b32_f16 v55, v57, v67
	v_pack_b32_f16 v24, v68, v24
	v_or_b32_e32 v22, v22, v73
	ds_write2_b32 v29, v55, v24 offset1:4
	v_lshl_add_u32 v22, v22, 2, 0
	v_pack_b32_f16 v24, v52, v64
	v_pack_b32_f16 v25, v65, v25
	;; [unrolled: 1-line block ×3, first 2 shown]
	ds_write2_b32 v22, v24, v25 offset1:4
	ds_write_b32 v22, v23 offset:32
	v_lshrrev_b32_e32 v22, 2, v20
	v_mul_lo_u32 v22, v22, 12
	v_or_b32_e32 v22, v22, v70
	v_lshl_add_u32 v22, v22, 2, 0
	v_pack_b32_f16 v23, v54, v69
	v_pack_b32_f16 v24, v61, v32
	ds_write2_b32 v22, v23, v24 offset1:4
	v_pack_b32_f16 v23, v60, v30
	ds_write_b32 v22, v23 offset:32
	v_lshrrev_b32_e32 v22, 2, v18
	v_mul_lo_u32 v22, v22, 12
	v_or_b32_e32 v22, v22, v71
	v_lshl_add_u32 v22, v22, 2, 0
	v_pack_b32_f16 v23, v75, v83
	v_pack_b32_f16 v24, v80, v33
	ds_write2_b32 v22, v23, v24 offset1:4
	v_pack_b32_f16 v23, v82, v31
	;; [unrolled: 9-line block ×4, first 2 shown]
	ds_write_b32 v22, v23 offset:32
	s_and_saveexec_b64 s[2:3], vcc
	s_cbranch_execz .LBB0_17
; %bb.16:
	v_lshrrev_b32_e32 v22, 2, v10
	v_mul_lo_u32 v22, v22, 12
	v_or_b32_e32 v22, v22, v50
	s_mov_b32 s6, 0x5040100
	v_lshl_add_u32 v22, v22, 2, 0
	v_perm_b32 v23, v36, v35, s6
	v_perm_b32 v24, v40, v37, s6
	ds_write2_b32 v22, v23, v24 offset1:4
	v_perm_b32 v23, v39, v38, s6
	ds_write_b32 v22, v23 offset:32
.LBB0_17:
	s_or_b64 exec, exec, s[2:3]
	v_add_u32_e32 v22, 0x400, v42
	s_waitcnt lgkmcnt(0)
	; wave barrier
	s_waitcnt lgkmcnt(0)
	ds_read2_b32 v[26:27], v22 offset0:164 offset1:227
	v_add_u32_e32 v22, 0xc00, v42
	v_add_u32_e32 v50, v19, v49
	v_add_u32_e32 v49, v21, v48
	v_add_u32_e32 v19, 0x800, v42
	v_add_u32_e32 v21, 0xe00, v42
	v_add_u32_e32 v48, v15, v47
	v_add_u32_e32 v15, 0x1000, v42
	ds_read2_b32 v[32:33], v22 offset0:72 offset1:135
	ds_read2_b32 v[28:29], v19 offset0:34 offset1:97
	;; [unrolled: 1-line block ×3, first 2 shown]
	v_add_u32_e32 v47, v17, v46
	ds_read2_b32 v[22:23], v19 offset0:160 offset1:223
	ds_read2_b32 v[24:25], v15 offset0:68 offset1:131
	v_add_u32_e32 v46, v13, v41
	ds_read_b32 v51, v42
	ds_read_b32 v41, v50
	;; [unrolled: 1-line block ×6, first 2 shown]
	s_and_saveexec_b64 s[2:3], vcc
	s_cbranch_execz .LBB0_19
; %bb.18:
	ds_read_b32 v35, v45
	ds_read_b32 v37, v42 offset:3192
	ds_read_b32 v38, v42 offset:4872
	s_waitcnt lgkmcnt(2)
	v_lshrrev_b32_e32 v36, 16, v35
	s_waitcnt lgkmcnt(1)
	v_lshrrev_b32_e32 v40, 16, v37
	;; [unrolled: 2-line block ×3, first 2 shown]
.LBB0_19:
	s_or_b64 exec, exec, s[2:3]
	s_movk_i32 s2, 0xab
	v_mul_lo_u16_sdwa v13, v0, s2 dst_sel:DWORD dst_unused:UNUSED_PAD src0_sel:BYTE_0 src1_sel:DWORD
	v_lshrrev_b16_e32 v68, 11, v13
	v_mul_lo_u16_sdwa v53, v4, s2 dst_sel:DWORD dst_unused:UNUSED_PAD src0_sel:BYTE_0 src1_sel:DWORD
	v_mul_lo_u16_e32 v13, 12, v68
	v_lshrrev_b16_e32 v70, 11, v53
	v_sub_u16_e32 v69, v0, v13
	v_mov_b32_e32 v13, 3
	v_mul_lo_u16_e32 v53, 12, v70
	v_lshlrev_b32_sdwa v52, v13, v69 dst_sel:DWORD dst_unused:UNUSED_PAD src0_sel:DWORD src1_sel:BYTE_0
	v_sub_u16_e32 v71, v4, v53
	v_mul_lo_u16_sdwa v53, v20, s2 dst_sel:DWORD dst_unused:UNUSED_PAD src0_sel:BYTE_0 src1_sel:DWORD
	global_load_dwordx2 v[54:55], v52, s[4:5] offset:40
	v_lshlrev_b32_sdwa v52, v13, v71 dst_sel:DWORD dst_unused:UNUSED_PAD src0_sel:DWORD src1_sel:BYTE_0
	v_lshrrev_b16_e32 v72, 11, v53
	global_load_dwordx2 v[56:57], v52, s[4:5] offset:40
	v_mul_lo_u16_e32 v52, 12, v72
	v_sub_u16_e32 v73, v20, v52
	v_lshlrev_b32_sdwa v52, v13, v73 dst_sel:DWORD dst_unused:UNUSED_PAD src0_sel:DWORD src1_sel:BYTE_0
	global_load_dwordx2 v[58:59], v52, s[4:5] offset:40
	v_mul_lo_u16_sdwa v52, v18, s2 dst_sel:DWORD dst_unused:UNUSED_PAD src0_sel:BYTE_0 src1_sel:DWORD
	v_lshrrev_b16_e32 v74, 11, v52
	v_mul_lo_u16_e32 v52, 12, v74
	v_sub_u16_e32 v75, v18, v52
	v_lshlrev_b32_sdwa v13, v13, v75 dst_sel:DWORD dst_unused:UNUSED_PAD src0_sel:DWORD src1_sel:BYTE_0
	s_mov_b32 s2, 0xaaab
	global_load_dwordx2 v[60:61], v13, s[4:5] offset:40
	v_mul_u32_u24_sdwa v13, v8, s2 dst_sel:DWORD dst_unused:UNUSED_PAD src0_sel:WORD_0 src1_sel:DWORD
	v_lshrrev_b32_e32 v76, 19, v13
	v_mul_lo_u16_e32 v13, 12, v76
	v_sub_u16_e32 v77, v8, v13
	v_lshlrev_b32_e32 v13, 3, v77
	global_load_dwordx2 v[62:63], v13, s[4:5] offset:40
	v_mul_u32_u24_sdwa v13, v9, s2 dst_sel:DWORD dst_unused:UNUSED_PAD src0_sel:WORD_0 src1_sel:DWORD
	v_lshrrev_b32_e32 v78, 19, v13
	v_mul_lo_u16_e32 v13, 12, v78
	v_sub_u16_e32 v79, v9, v13
	v_lshlrev_b32_e32 v9, 3, v79
	;; [unrolled: 6-line block ×3, first 2 shown]
	global_load_dwordx2 v[66:67], v9, s[4:5] offset:40
	s_waitcnt lgkmcnt(11)
	v_lshrrev_b32_e32 v89, 16, v26
	s_waitcnt lgkmcnt(10)
	v_lshrrev_b32_e32 v90, 16, v32
	v_lshrrev_b32_e32 v91, 16, v27
	v_lshrrev_b32_e32 v92, 16, v33
	s_waitcnt lgkmcnt(9)
	v_lshrrev_b32_e32 v93, 16, v28
	s_waitcnt lgkmcnt(8)
	v_lshrrev_b32_e32 v94, 16, v30
	v_lshrrev_b32_e32 v95, 16, v29
	v_lshrrev_b32_e32 v82, 16, v31
	;; [unrolled: 6-line block ×3, first 2 shown]
	s_waitcnt lgkmcnt(5)
	v_lshrrev_b32_e32 v9, 16, v51
	s_mov_b32 s2, 0xbaee
	s_movk_i32 s3, 0x3aee
	v_sub_u32_e32 v13, 0, v34
	s_waitcnt lgkmcnt(4)
	v_lshrrev_b32_e32 v34, 16, v41
	s_waitcnt lgkmcnt(3)
	v_lshrrev_b32_e32 v80, 16, v21
	;; [unrolled: 2-line block ×5, first 2 shown]
	v_mul_u32_u24_e32 v68, 0x90, v68
	s_waitcnt lgkmcnt(0)
	; wave barrier
	s_mov_b32 s6, 0x5040100
	s_waitcnt vmcnt(6)
	v_mul_f16_sdwa v96, v54, v89 dst_sel:DWORD dst_unused:UNUSED_PAD src0_sel:WORD_1 src1_sel:DWORD
	v_mul_f16_sdwa v97, v54, v26 dst_sel:DWORD dst_unused:UNUSED_PAD src0_sel:WORD_1 src1_sel:DWORD
	v_mul_f16_sdwa v98, v55, v32 dst_sel:DWORD dst_unused:UNUSED_PAD src0_sel:WORD_1 src1_sel:DWORD
	v_mul_f16_sdwa v99, v55, v90 dst_sel:DWORD dst_unused:UNUSED_PAD src0_sel:WORD_1 src1_sel:DWORD
	s_waitcnt vmcnt(5)
	v_mul_f16_sdwa v100, v56, v91 dst_sel:DWORD dst_unused:UNUSED_PAD src0_sel:WORD_1 src1_sel:DWORD
	v_mul_f16_sdwa v101, v56, v27 dst_sel:DWORD dst_unused:UNUSED_PAD src0_sel:WORD_1 src1_sel:DWORD
	v_mul_f16_sdwa v102, v57, v92 dst_sel:DWORD dst_unused:UNUSED_PAD src0_sel:WORD_1 src1_sel:DWORD
	v_mul_f16_sdwa v103, v57, v33 dst_sel:DWORD dst_unused:UNUSED_PAD src0_sel:WORD_1 src1_sel:DWORD
	;; [unrolled: 5-line block ×3, first 2 shown]
	v_fma_f16 v89, v54, v89, -v97
	v_fma_f16 v54, v54, v26, v96
	s_waitcnt vmcnt(3)
	v_mul_f16_sdwa v26, v60, v95 dst_sel:DWORD dst_unused:UNUSED_PAD src0_sel:WORD_1 src1_sel:DWORD
	v_fma_f16 v90, v55, v90, -v98
	v_fma_f16 v32, v55, v32, v99
	v_fma_f16 v27, v56, v27, v100
	;; [unrolled: 1-line block ×3, first 2 shown]
	v_fma_f16 v55, v56, v91, -v101
	v_fma_f16 v56, v57, v92, -v103
	v_fma_f16 v28, v58, v28, v104
	v_fma_f16 v57, v58, v93, -v105
	v_fma_f16 v30, v59, v30, v106
	;; [unrolled: 2-line block ×3, first 2 shown]
	v_mul_f16_sdwa v26, v60, v29 dst_sel:DWORD dst_unused:UNUSED_PAD src0_sel:WORD_1 src1_sel:DWORD
	v_fma_f16 v29, v60, v95, -v26
	v_mul_f16_sdwa v26, v82, v61 dst_sel:DWORD dst_unused:UNUSED_PAD src0_sel:DWORD src1_sel:WORD_1
	v_fma_f16 v60, v31, v61, v26
	v_mul_f16_sdwa v26, v31, v61 dst_sel:DWORD dst_unused:UNUSED_PAD src0_sel:DWORD src1_sel:WORD_1
	v_fma_f16 v31, v82, v61, -v26
	s_waitcnt vmcnt(2)
	v_mul_f16_sdwa v26, v84, v62 dst_sel:DWORD dst_unused:UNUSED_PAD src0_sel:DWORD src1_sel:WORD_1
	v_fma_f16 v61, v22, v62, v26
	v_mul_f16_sdwa v22, v22, v62 dst_sel:DWORD dst_unused:UNUSED_PAD src0_sel:DWORD src1_sel:WORD_1
	v_fma_f16 v62, v84, v62, -v22
	v_mul_f16_sdwa v22, v85, v63 dst_sel:DWORD dst_unused:UNUSED_PAD src0_sel:DWORD src1_sel:WORD_1
	v_fma_f16 v82, v24, v63, v22
	v_mul_f16_sdwa v22, v24, v63 dst_sel:DWORD dst_unused:UNUSED_PAD src0_sel:DWORD src1_sel:WORD_1
	v_fma_f16 v63, v85, v63, -v22
	s_waitcnt vmcnt(1)
	v_mul_f16_sdwa v22, v87, v64 dst_sel:DWORD dst_unused:UNUSED_PAD src0_sel:DWORD src1_sel:WORD_1
	v_fma_f16 v84, v23, v64, v22
	v_mul_f16_sdwa v22, v23, v64 dst_sel:DWORD dst_unused:UNUSED_PAD src0_sel:DWORD src1_sel:WORD_1
	v_fma_f16 v23, v87, v64, -v22
	v_mul_f16_sdwa v22, v88, v65 dst_sel:DWORD dst_unused:UNUSED_PAD src0_sel:DWORD src1_sel:WORD_1
	s_waitcnt vmcnt(0)
	v_mul_f16_sdwa v24, v37, v66 dst_sel:DWORD dst_unused:UNUSED_PAD src0_sel:DWORD src1_sel:WORD_1
	v_fma_f16 v64, v25, v65, v22
	v_mul_f16_sdwa v22, v25, v65 dst_sel:DWORD dst_unused:UNUSED_PAD src0_sel:DWORD src1_sel:WORD_1
	v_fma_f16 v25, v40, v66, -v24
	v_mul_f16_sdwa v24, v39, v67 dst_sel:DWORD dst_unused:UNUSED_PAD src0_sel:DWORD src1_sel:WORD_1
	v_fma_f16 v65, v88, v65, -v22
	v_mul_f16_sdwa v22, v40, v66 dst_sel:DWORD dst_unused:UNUSED_PAD src0_sel:DWORD src1_sel:WORD_1
	v_fma_f16 v24, v38, v67, v24
	v_mul_f16_sdwa v26, v38, v67 dst_sel:DWORD dst_unused:UNUSED_PAD src0_sel:DWORD src1_sel:WORD_1
	v_add_f16_e32 v38, v54, v32
	v_fma_f16 v22, v37, v66, v22
	v_fma_f16 v26, v39, v67, -v26
	v_add_f16_e32 v37, v51, v54
	v_fma_f16 v38, v38, -0.5, v51
	v_sub_f16_e32 v39, v89, v90
	v_add_f16_e32 v51, v89, v90
	v_add_f16_e32 v37, v37, v32
	v_fma_f16 v40, v39, s2, v38
	v_fma_f16 v38, v39, s3, v38
	v_add_f16_e32 v39, v9, v89
	v_fma_f16 v9, v51, -0.5, v9
	v_sub_f16_e32 v32, v54, v32
	v_fma_f16 v51, v32, s3, v9
	v_fma_f16 v32, v32, s2, v9
	v_add_f16_e32 v9, v41, v27
	v_add_f16_e32 v54, v9, v33
	v_add_f16_e32 v9, v27, v33
	v_fma_f16 v9, v9, -0.5, v41
	v_sub_f16_e32 v41, v55, v56
	v_fma_f16 v66, v41, s2, v9
	v_fma_f16 v41, v41, s3, v9
	v_add_f16_e32 v9, v34, v55
	v_add_f16_e32 v67, v9, v56
	;; [unrolled: 7-line block ×10, first 2 shown]
	v_add_f16_e32 v90, v9, v65
	v_add_f16_e32 v9, v23, v65
	v_fma_f16 v9, v9, -0.5, v86
	v_sub_f16_e32 v15, v84, v64
	v_fma_f16 v64, v15, s3, v9
	v_fma_f16 v65, v15, s2, v9
	v_mov_b32_e32 v15, 2
	v_lshlrev_b32_sdwa v69, v15, v69 dst_sel:DWORD dst_unused:UNUSED_PAD src0_sel:DWORD src1_sel:BYTE_0
	v_add3_u32 v68, 0, v68, v69
	v_pack_b32_f16 v37, v37, v39
	v_pack_b32_f16 v39, v40, v51
	v_pack_b32_f16 v32, v38, v32
	ds_write2_b32 v68, v37, v39 offset1:12
	ds_write_b32 v68, v32 offset:96
	v_mul_u32_u24_e32 v32, 0x90, v70
	v_lshlrev_b32_sdwa v37, v15, v71 dst_sel:DWORD dst_unused:UNUSED_PAD src0_sel:DWORD src1_sel:BYTE_0
	v_add3_u32 v32, 0, v32, v37
	v_pack_b32_f16 v37, v54, v67
	v_pack_b32_f16 v33, v66, v33
	ds_write2_b32 v32, v37, v33 offset1:12
	v_pack_b32_f16 v33, v41, v34
	ds_write_b32 v32, v33 offset:96
	v_mul_u32_u24_e32 v32, 0x90, v72
	v_lshlrev_b32_sdwa v33, v15, v73 dst_sel:DWORD dst_unused:UNUSED_PAD src0_sel:DWORD src1_sel:BYTE_0
	v_add3_u32 v32, 0, v32, v33
	v_pack_b32_f16 v33, v55, v87
	v_pack_b32_f16 v28, v56, v28
	ds_write2_b32 v32, v33, v28 offset1:12
	v_pack_b32_f16 v28, v85, v30
	v_add_f16_e32 v9, v22, v24
	ds_write_b32 v32, v28 offset:96
	v_mul_u32_u24_e32 v28, 0x90, v74
	v_lshlrev_b32_sdwa v30, v15, v75 dst_sel:DWORD dst_unused:UNUSED_PAD src0_sel:DWORD src1_sel:BYTE_0
	v_fma_f16 v17, v9, -0.5, v35
	v_add_f16_e32 v9, v25, v26
	v_add3_u32 v28, 0, v28, v30
	v_pack_b32_f16 v30, v57, v88
	v_pack_b32_f16 v29, v58, v29
	v_fma_f16 v21, v9, -0.5, v36
	v_sub_f16_e32 v27, v22, v24
	ds_write2_b32 v28, v30, v29 offset1:12
	v_pack_b32_f16 v29, v80, v31
	v_fma_f16 v9, v27, s2, v21
	s_movk_i32 s2, 0x90
	ds_write_b32 v28, v29 offset:96
	v_perm_b32 v28, v78, v76, s6
	v_pk_mul_lo_u16 v28, v28, s2 op_sel_hi:[1,0]
	v_lshlrev_b32_e32 v30, 2, v77
	v_and_b32_e32 v29, 0xfff0, v28
	v_add3_u32 v29, 0, v29, v30
	v_pack_b32_f16 v30, v59, v89
	v_pack_b32_f16 v31, v60, v61
	ds_write2_b32 v29, v30, v31 offset1:12
	v_pack_b32_f16 v30, v81, v62
	ds_write_b32 v29, v30 offset:96
	v_lshrrev_b32_e32 v28, 16, v28
	v_lshlrev_b32_e32 v29, 2, v79
	v_sub_f16_e32 v19, v25, v26
	v_add3_u32 v28, 0, v28, v29
	v_pack_b32_f16 v29, v63, v90
	v_pack_b32_f16 v30, v82, v64
	v_fma_f16 v23, v19, s3, v17
	ds_write2_b32 v28, v29, v30 offset1:12
	v_pack_b32_f16 v29, v83, v65
	ds_write_b32 v28, v29 offset:96
	s_and_saveexec_b64 s[2:3], vcc
	s_cbranch_execz .LBB0_21
; %bb.20:
	v_mul_f16_e32 v19, 0x3aee, v19
	v_add_f16_e32 v22, v35, v22
	v_mul_f16_e32 v27, 0x3aee, v27
	v_sub_f16_e32 v17, v17, v19
	v_add_f16_e32 v19, v36, v25
	v_add_f16_e32 v22, v22, v24
	v_mul_lo_u16_e32 v24, 36, v52
	v_add_f16_e32 v21, v27, v21
	v_add_f16_e32 v19, v19, v26
	v_lshlrev_b32_e32 v25, 2, v53
	v_lshlrev_b32_e32 v24, 2, v24
	v_add3_u32 v24, 0, v25, v24
	v_pack_b32_f16 v19, v22, v19
	v_pack_b32_f16 v17, v17, v21
	ds_write2_b32 v24, v19, v17 offset1:12
	v_perm_b32 v17, v9, v23, s6
	ds_write_b32 v24, v17 offset:96
.LBB0_21:
	s_or_b64 exec, exec, s[2:3]
	v_subrev_u32_e32 v17, 36, v0
	v_cmp_gt_u32_e32 vcc, 36, v0
	v_mov_b32_e32 v25, 0
	v_mov_b32_e32 v19, 4
	v_cndmask_b32_e32 v17, v17, v0, vcc
	v_lshlrev_b32_e32 v24, 2, v17
	v_mov_b32_e32 v17, 57
	v_mul_lo_u16_sdwa v21, v4, v17 dst_sel:DWORD dst_unused:UNUSED_PAD src0_sel:BYTE_0 src1_sel:DWORD
	v_lshrrev_b16_e32 v70, 11, v21
	v_mul_lo_u16_e32 v21, 36, v70
	v_lshl_add_u64 v[26:27], v[24:25], 2, s[4:5]
	v_sub_u16_e32 v21, v4, v21
	s_waitcnt lgkmcnt(0)
	; wave barrier
	s_waitcnt lgkmcnt(0)
	global_load_dwordx4 v[26:29], v[26:27], off offset:136
	v_lshlrev_b32_sdwa v22, v19, v21 dst_sel:DWORD dst_unused:UNUSED_PAD src0_sel:DWORD src1_sel:BYTE_0
	global_load_dwordx4 v[30:33], v22, s[4:5] offset:136
	v_add_u32_e32 v51, v11, v13
	v_mul_lo_u16_sdwa v11, v20, v17 dst_sel:DWORD dst_unused:UNUSED_PAD src0_sel:BYTE_0 src1_sel:DWORD
	v_lshrrev_b16_e32 v71, 11, v11
	v_mul_lo_u16_e32 v11, 36, v71
	v_sub_u16_e32 v11, v20, v11
	v_lshlrev_b32_sdwa v13, v19, v11 dst_sel:DWORD dst_unused:UNUSED_PAD src0_sel:DWORD src1_sel:BYTE_0
	global_load_dwordx4 v[34:37], v13, s[4:5] offset:136
	v_mul_lo_u16_sdwa v17, v18, v17 dst_sel:DWORD dst_unused:UNUSED_PAD src0_sel:BYTE_0 src1_sel:DWORD
	v_lshrrev_b16_e32 v77, 11, v17
	v_mul_lo_u16_e32 v17, 36, v77
	v_sub_u16_e32 v17, v18, v17
	v_lshlrev_b32_sdwa v19, v19, v17 dst_sel:DWORD dst_unused:UNUSED_PAD src0_sel:DWORD src1_sel:BYTE_0
	v_add_u32_e32 v53, 0xa00, v42
	ds_read_b32 v13, v42
	ds_read_b32 v22, v50
	;; [unrolled: 1-line block ×4, first 2 shown]
	ds_read2_b32 v[56:57], v53 offset0:116 offset1:179
	global_load_dwordx4 v[38:41], v19, s[4:5] offset:136
	v_add_u32_e32 v72, 0xe00, v42
	v_add_u32_e32 v55, 0x400, v42
	;; [unrolled: 1-line block ×6, first 2 shown]
	ds_read2_b32 v[58:59], v72 offset0:112 offset1:175
	ds_read2_b32 v[60:61], v55 offset0:59 offset1:122
	ds_read2_b32 v[62:63], v73 offset0:57 offset1:183
	ds_read2_b32 v[64:65], v74 offset0:118 offset1:181
	ds_read2_b32 v[66:67], v75 offset0:114 offset1:177
	ds_read2_b32 v[68:69], v54 offset0:110 offset1:173
	ds_read_b32 v19, v47
	ds_read_b32 v78, v48
	s_waitcnt lgkmcnt(6)
	v_lshrrev_b32_e32 v83, 16, v60
	s_waitcnt lgkmcnt(5)
	v_lshrrev_b32_e32 v84, 16, v63
	v_lshrrev_b32_e32 v85, 16, v57
	s_waitcnt lgkmcnt(1)
	v_lshrrev_b32_e32 v82, 16, v19
	v_lshrrev_b32_e32 v86, 16, v59
	;; [unrolled: 1-line block ×13, first 2 shown]
	s_mov_b32 s3, 0xbb9c
	s_movk_i32 s7, 0x3b9c
	s_mov_b32 s2, 0xb8b4
	s_movk_i32 s8, 0x38b4
	s_movk_i32 s6, 0x34f2
	v_lshrrev_b32_e32 v79, 16, v13
	v_lshrrev_b32_e32 v80, 16, v22
	;; [unrolled: 1-line block ×3, first 2 shown]
	s_waitcnt lgkmcnt(0)
	v_lshrrev_b32_e32 v91, 16, v78
	v_cmp_lt_u32_e32 vcc, 35, v0
	s_waitcnt lgkmcnt(0)
	; wave barrier
	s_waitcnt vmcnt(3)
	v_mul_f16_sdwa v99, v26, v82 dst_sel:DWORD dst_unused:UNUSED_PAD src0_sel:WORD_1 src1_sel:DWORD
	v_mul_f16_sdwa v100, v26, v19 dst_sel:DWORD dst_unused:UNUSED_PAD src0_sel:WORD_1 src1_sel:DWORD
	v_fma_f16 v19, v26, v19, v99
	v_fma_f16 v26, v26, v82, -v100
	v_lshlrev_b32_sdwa v82, v15, v21 dst_sel:DWORD dst_unused:UNUSED_PAD src0_sel:DWORD src1_sel:BYTE_0
	s_waitcnt vmcnt(2)
	v_mul_f16_sdwa v21, v83, v30 dst_sel:DWORD dst_unused:UNUSED_PAD src0_sel:DWORD src1_sel:WORD_1
	v_fma_f16 v21, v60, v30, v21
	v_mul_f16_sdwa v60, v60, v30 dst_sel:DWORD dst_unused:UNUSED_PAD src0_sel:DWORD src1_sel:WORD_1
	v_fma_f16 v30, v83, v30, -v60
	v_mul_f16_sdwa v60, v84, v31 dst_sel:DWORD dst_unused:UNUSED_PAD src0_sel:DWORD src1_sel:WORD_1
	v_fma_f16 v60, v63, v31, v60
	v_mul_f16_sdwa v63, v63, v31 dst_sel:DWORD dst_unused:UNUSED_PAD src0_sel:DWORD src1_sel:WORD_1
	v_fma_f16 v31, v84, v31, -v63
	;; [unrolled: 4-line block ×4, first 2 shown]
	v_lshlrev_b32_sdwa v59, v15, v11 dst_sel:DWORD dst_unused:UNUSED_PAD src0_sel:DWORD src1_sel:BYTE_0
	s_waitcnt vmcnt(1)
	v_mul_f16_sdwa v11, v87, v34 dst_sel:DWORD dst_unused:UNUSED_PAD src0_sel:DWORD src1_sel:WORD_1
	v_fma_f16 v83, v61, v34, v11
	v_mul_f16_sdwa v11, v61, v34 dst_sel:DWORD dst_unused:UNUSED_PAD src0_sel:DWORD src1_sel:WORD_1
	v_fma_f16 v34, v87, v34, -v11
	v_mul_f16_sdwa v11, v88, v35 dst_sel:DWORD dst_unused:UNUSED_PAD src0_sel:DWORD src1_sel:WORD_1
	v_fma_f16 v61, v64, v35, v11
	v_mul_f16_sdwa v11, v64, v35 dst_sel:DWORD dst_unused:UNUSED_PAD src0_sel:DWORD src1_sel:WORD_1
	v_fma_f16 v35, v88, v35, -v11
	;; [unrolled: 4-line block ×4, first 2 shown]
	s_waitcnt vmcnt(0)
	v_mul_f16_sdwa v11, v92, v38 dst_sel:DWORD dst_unused:UNUSED_PAD src0_sel:DWORD src1_sel:WORD_1
	v_lshlrev_b32_sdwa v68, v15, v17 dst_sel:DWORD dst_unused:UNUSED_PAD src0_sel:DWORD src1_sel:BYTE_0
	v_fma_f16 v17, v62, v38, v11
	v_mul_f16_sdwa v11, v62, v38 dst_sel:DWORD dst_unused:UNUSED_PAD src0_sel:DWORD src1_sel:WORD_1
	v_fma_f16 v38, v92, v38, -v11
	v_mul_f16_sdwa v11, v93, v39 dst_sel:DWORD dst_unused:UNUSED_PAD src0_sel:DWORD src1_sel:WORD_1
	v_fma_f16 v62, v65, v39, v11
	v_mul_f16_sdwa v11, v65, v39 dst_sel:DWORD dst_unused:UNUSED_PAD src0_sel:DWORD src1_sel:WORD_1
	v_fma_f16 v39, v93, v39, -v11
	v_mul_f16_sdwa v11, v94, v40 dst_sel:DWORD dst_unused:UNUSED_PAD src0_sel:DWORD src1_sel:WORD_1
	;; [unrolled: 4-line block ×3, first 2 shown]
	v_mul_f16_sdwa v101, v27, v96 dst_sel:DWORD dst_unused:UNUSED_PAD src0_sel:WORD_1 src1_sel:DWORD
	v_fma_f16 v67, v69, v41, v11
	v_mul_f16_sdwa v11, v69, v41 dst_sel:DWORD dst_unused:UNUSED_PAD src0_sel:DWORD src1_sel:WORD_1
	v_mul_f16_sdwa v102, v27, v76 dst_sel:DWORD dst_unused:UNUSED_PAD src0_sel:WORD_1 src1_sel:DWORD
	v_mul_f16_sdwa v103, v28, v97 dst_sel:DWORD dst_unused:UNUSED_PAD src0_sel:WORD_1 src1_sel:DWORD
	v_fma_f16 v76, v27, v76, v101
	v_fma_f16 v41, v95, v41, -v11
	v_add_f16_e32 v11, v13, v19
	v_mul_f16_sdwa v104, v28, v56 dst_sel:DWORD dst_unused:UNUSED_PAD src0_sel:WORD_1 src1_sel:DWORD
	v_mul_f16_sdwa v105, v29, v98 dst_sel:DWORD dst_unused:UNUSED_PAD src0_sel:WORD_1 src1_sel:DWORD
	v_fma_f16 v56, v28, v56, v103
	v_add_f16_e32 v11, v11, v76
	v_mul_f16_sdwa v106, v29, v58 dst_sel:DWORD dst_unused:UNUSED_PAD src0_sel:WORD_1 src1_sel:DWORD
	v_fma_f16 v58, v29, v58, v105
	v_add_f16_e32 v11, v11, v56
	v_fma_f16 v29, v29, v98, -v106
	v_add_f16_e32 v69, v11, v58
	v_add_f16_e32 v11, v76, v56
	v_fma_f16 v27, v27, v96, -v102
	v_fma_f16 v28, v28, v97, -v104
	v_fma_f16 v11, v11, -0.5, v13
	v_sub_f16_e32 v15, v26, v29
	v_fma_f16 v84, v15, s3, v11
	v_sub_f16_e32 v85, v27, v28
	v_sub_f16_e32 v86, v19, v76
	;; [unrolled: 1-line block ×3, first 2 shown]
	v_fma_f16 v11, v15, s7, v11
	v_fma_f16 v84, v85, s2, v84
	v_add_f16_e32 v86, v86, v87
	v_fma_f16 v11, v85, s8, v11
	v_fma_f16 v84, v86, s6, v84
	;; [unrolled: 1-line block ×3, first 2 shown]
	v_add_f16_e32 v11, v19, v58
	v_fma_f16 v11, v11, -0.5, v13
	v_fma_f16 v13, v85, s7, v11
	v_sub_f16_e32 v87, v76, v19
	v_sub_f16_e32 v88, v56, v58
	v_fma_f16 v11, v85, s3, v11
	v_add_f16_e32 v87, v87, v88
	v_fma_f16 v11, v15, s8, v11
	v_fma_f16 v85, v87, s6, v11
	v_add_f16_e32 v11, v79, v26
	v_add_f16_e32 v11, v11, v27
	v_fma_f16 v13, v15, s2, v13
	v_add_f16_e32 v11, v11, v28
	v_fma_f16 v88, v87, s6, v13
	v_add_f16_e32 v87, v11, v29
	v_add_f16_e32 v11, v27, v28
	v_fma_f16 v11, v11, -0.5, v79
	v_sub_f16_e32 v13, v19, v58
	v_fma_f16 v15, v13, s7, v11
	v_sub_f16_e32 v19, v76, v56
	v_sub_f16_e32 v56, v26, v27
	;; [unrolled: 1-line block ×3, first 2 shown]
	v_fma_f16 v11, v13, s3, v11
	v_fma_f16 v15, v19, s8, v15
	v_add_f16_e32 v56, v56, v58
	v_fma_f16 v11, v19, s2, v11
	v_fma_f16 v58, v56, s6, v15
	v_fma_f16 v56, v56, s6, v11
	v_add_f16_e32 v11, v26, v29
	v_fma_f16 v11, v11, -0.5, v79
	v_fma_f16 v15, v19, s3, v11
	v_sub_f16_e32 v26, v27, v26
	v_sub_f16_e32 v27, v28, v29
	v_fma_f16 v11, v19, s7, v11
	v_add_f16_e32 v26, v26, v27
	v_fma_f16 v11, v13, s2, v11
	v_fma_f16 v79, v26, s6, v11
	v_add_f16_e32 v11, v22, v21
	v_add_f16_e32 v11, v11, v60
	v_add_f16_e32 v11, v11, v63
	v_add_f16_e32 v89, v11, v57
	v_add_f16_e32 v11, v60, v63
	v_fma_f16 v15, v13, s8, v15
	v_fma_f16 v11, v11, -0.5, v22
	v_sub_f16_e32 v13, v30, v33
	v_fma_f16 v76, v26, s6, v15
	v_fma_f16 v15, v13, s3, v11
	v_sub_f16_e32 v19, v31, v32
	v_sub_f16_e32 v26, v21, v60
	v_sub_f16_e32 v27, v57, v63
	v_fma_f16 v11, v13, s7, v11
	v_add_f16_e32 v26, v26, v27
	v_fma_f16 v11, v19, s8, v11
	v_fma_f16 v92, v26, s6, v11
	v_add_f16_e32 v11, v21, v57
	v_fma_f16 v15, v19, s2, v15
	v_fma_f16 v11, v11, -0.5, v22
	v_fma_f16 v90, v26, s6, v15
	v_fma_f16 v15, v19, s7, v11
	v_sub_f16_e32 v22, v60, v21
	v_sub_f16_e32 v26, v63, v57
	v_fma_f16 v11, v19, s3, v11
	v_add_f16_e32 v22, v22, v26
	v_fma_f16 v11, v13, s8, v11
	v_fma_f16 v94, v22, s6, v11
	v_add_f16_e32 v11, v80, v30
	v_add_f16_e32 v11, v11, v31
	v_add_f16_e32 v11, v11, v32
	v_add_f16_e32 v95, v11, v33
	v_add_f16_e32 v11, v31, v32
	v_fma_f16 v15, v13, s2, v15
	v_fma_f16 v11, v11, -0.5, v80
	v_sub_f16_e32 v13, v21, v57
	v_fma_f16 v93, v22, s6, v15
	v_fma_f16 v15, v13, s7, v11
	v_sub_f16_e32 v19, v60, v63
	v_sub_f16_e32 v21, v30, v31
	v_sub_f16_e32 v22, v33, v32
	v_fma_f16 v11, v13, s3, v11
	v_add_f16_e32 v21, v21, v22
	v_fma_f16 v11, v19, s2, v11
	v_fma_f16 v60, v21, s6, v11
	v_add_f16_e32 v11, v30, v33
	v_fma_f16 v15, v19, s8, v15
	v_fma_f16 v11, v11, -0.5, v80
	v_fma_f16 v57, v21, s6, v15
	;; [unrolled: 28-line block ×3, first 2 shown]
	v_fma_f16 v21, v19, s7, v15
	v_sub_f16_e32 v22, v61, v83
	v_sub_f16_e32 v26, v64, v66
	v_fma_f16 v15, v19, s3, v15
	v_fma_f16 v21, v13, s2, v21
	v_add_f16_e32 v22, v22, v26
	v_fma_f16 v13, v13, s8, v15
	v_fma_f16 v80, v22, s6, v13
	v_add_f16_e32 v13, v81, v34
	v_add_f16_e32 v13, v13, v35
	;; [unrolled: 1-line block ×5, first 2 shown]
	v_fma_f16 v13, v13, -0.5, v81
	v_sub_f16_e32 v15, v83, v66
	v_fma_f16 v63, v22, s6, v21
	v_fma_f16 v19, v15, s7, v13
	v_sub_f16_e32 v21, v61, v64
	v_sub_f16_e32 v22, v34, v35
	;; [unrolled: 1-line block ×3, first 2 shown]
	v_fma_f16 v19, v21, s8, v19
	v_add_f16_e32 v22, v22, v26
	v_fma_f16 v61, v22, s6, v19
	v_fma_f16 v13, v15, s3, v13
	v_add_f16_e32 v19, v34, v37
	v_fma_f16 v13, v21, s2, v13
	v_fma_f16 v19, v19, -0.5, v81
	v_fma_f16 v13, v22, s6, v13
	v_fma_f16 v22, v21, s3, v19
	v_sub_f16_e32 v26, v35, v34
	v_sub_f16_e32 v27, v36, v37
	v_fma_f16 v19, v21, s7, v19
	v_fma_f16 v22, v15, s8, v22
	v_add_f16_e32 v26, v26, v27
	v_fma_f16 v15, v15, s2, v19
	v_fma_f16 v35, v26, s6, v15
	v_add_f16_e32 v15, v78, v17
	v_add_f16_e32 v15, v15, v62
	;; [unrolled: 1-line block ×3, first 2 shown]
	v_fma_f16 v34, v26, s6, v22
	v_add_f16_e32 v26, v15, v67
	v_add_f16_e32 v15, v62, v65
	v_fma_f16 v15, v15, -0.5, v78
	v_sub_f16_e32 v19, v38, v41
	v_fma_f16 v21, v19, s3, v15
	v_sub_f16_e32 v29, v39, v40
	v_sub_f16_e32 v22, v17, v62
	;; [unrolled: 1-line block ×3, first 2 shown]
	v_fma_f16 v15, v19, s7, v15
	v_fma_f16 v21, v29, s2, v21
	v_add_f16_e32 v22, v22, v27
	v_fma_f16 v15, v29, s8, v15
	v_fma_f16 v27, v22, s6, v21
	;; [unrolled: 1-line block ×3, first 2 shown]
	v_add_f16_e32 v15, v17, v67
	v_fma_f16 v15, v15, -0.5, v78
	v_fma_f16 v21, v29, s7, v15
	v_sub_f16_e32 v28, v62, v17
	v_sub_f16_e32 v36, v65, v67
	v_fma_f16 v15, v29, s3, v15
	v_fma_f16 v21, v19, s2, v21
	v_add_f16_e32 v36, v28, v36
	v_fma_f16 v15, v19, s8, v15
	v_add_f16_e32 v19, v39, v40
	v_fma_f16 v28, v36, s6, v21
	v_fma_f16 v29, v36, s6, v15
	v_fma_f16 v19, v19, -0.5, v91
	v_sub_f16_e32 v36, v17, v67
	v_fma_f16 v17, v36, s7, v19
	v_sub_f16_e32 v37, v62, v65
	v_sub_f16_e32 v21, v38, v39
	;; [unrolled: 1-line block ×3, first 2 shown]
	v_fma_f16 v19, v36, s3, v19
	v_fma_f16 v17, v37, s8, v17
	v_add_f16_e32 v21, v21, v52
	v_fma_f16 v19, v37, s2, v19
	v_fma_f16 v17, v21, s6, v17
	;; [unrolled: 1-line block ×3, first 2 shown]
	v_add_f16_e32 v21, v38, v41
	v_add_f16_e32 v15, v91, v38
	v_fma_f16 v52, v21, -0.5, v91
	v_add_f16_e32 v15, v15, v39
	v_fma_f16 v21, v37, s3, v52
	v_sub_f16_e32 v38, v39, v38
	v_sub_f16_e32 v39, v40, v41
	v_fma_f16 v37, v37, s7, v52
	v_fma_f16 v21, v36, s8, v21
	v_add_f16_e32 v38, v38, v39
	v_fma_f16 v36, v36, s2, v37
	v_fma_f16 v52, v38, s6, v36
	v_mov_b32_e32 v36, 0x2d0
	v_cndmask_b32_e32 v36, 0, v36, vcc
	v_add3_u32 v24, 0, v36, v24
	v_pack_b32_f16 v36, v69, v87
	v_pack_b32_f16 v37, v84, v58
	ds_write2_b32 v24, v36, v37 offset1:36
	v_pack_b32_f16 v36, v88, v76
	v_pack_b32_f16 v37, v85, v79
	ds_write2_b32 v24, v36, v37 offset0:72 offset1:108
	v_pack_b32_f16 v36, v86, v56
	ds_write_b32 v24, v36 offset:576
	v_mul_u32_u24_e32 v24, 0x2d0, v70
	v_add3_u32 v24, 0, v24, v82
	v_pack_b32_f16 v30, v93, v30
	v_pack_b32_f16 v31, v94, v31
	;; [unrolled: 1-line block ×4, first 2 shown]
	ds_write2_b32 v24, v30, v31 offset0:72 offset1:108
	v_pack_b32_f16 v30, v92, v60
	ds_write2_b32 v24, v36, v37 offset1:36
	ds_write_b32 v24, v30 offset:576
	v_mul_u32_u24_e32 v24, 0x2d0, v71
	v_add3_u32 v24, 0, v24, v59
	v_pack_b32_f16 v30, v32, v96
	v_pack_b32_f16 v31, v33, v61
	ds_write2_b32 v24, v30, v31 offset1:36
	v_pack_b32_f16 v30, v63, v34
	v_pack_b32_f16 v31, v80, v35
	v_add_f16_e32 v15, v15, v40
	ds_write2_b32 v24, v30, v31 offset0:72 offset1:108
	v_pack_b32_f16 v30, v11, v13
	v_add_f16_e32 v15, v15, v41
	ds_write_b32 v24, v30 offset:576
	v_mul_u32_u24_e32 v24, 0x2d0, v77
	v_fma_f16 v21, v38, s6, v21
	v_add3_u32 v24, 0, v24, v68
	v_pack_b32_f16 v30, v26, v15
	v_pack_b32_f16 v31, v27, v17
	ds_write2_b32 v24, v30, v31 offset1:36
	v_pack_b32_f16 v30, v28, v21
	v_pack_b32_f16 v31, v29, v52
	ds_write2_b32 v24, v30, v31 offset0:72 offset1:108
	v_pack_b32_f16 v30, v22, v19
	ds_write_b32 v24, v30 offset:576
	v_add_u32_e32 v24, 0x200, v42
	s_waitcnt lgkmcnt(0)
	; wave barrier
	s_waitcnt lgkmcnt(0)
	ds_read2_b32 v[30:31], v42 offset1:180
	ds_read2_b32 v[32:33], v24 offset0:115 offset1:232
	ds_read2_b32 v[34:35], v73 offset0:39 offset1:156
	;; [unrolled: 1-line block ×5, first 2 shown]
	ds_read_b32 v56, v50
	ds_read_b32 v57, v42 offset:4572
	v_cmp_gt_u32_e32 vcc, 54, v0
	s_and_saveexec_b64 s[2:3], vcc
	s_cbranch_execz .LBB0_23
; %bb.22:
	ds_read_b32 v11, v49
	ds_read2_b32 v[26:27], v55 offset0:50 offset1:230
	ds_read2_b32 v[28:29], v53 offset0:26 offset1:206
	;; [unrolled: 1-line block ×3, first 2 shown]
	s_waitcnt lgkmcnt(3)
	v_lshrrev_b32_e32 v13, 16, v11
	s_waitcnt lgkmcnt(2)
	v_lshrrev_b32_e32 v15, 16, v26
	v_lshrrev_b32_e32 v17, 16, v27
	s_waitcnt lgkmcnt(1)
	v_lshrrev_b32_e32 v21, 16, v28
	;; [unrolled: 3-line block ×3, first 2 shown]
	v_lshrrev_b32_e32 v9, 16, v23
.LBB0_23:
	s_or_b64 exec, exec, s[2:3]
	v_mul_u32_u24_e32 v24, 6, v0
	v_lshlrev_b32_e32 v24, 2, v24
	global_load_dwordx4 v[58:61], v24, s[4:5] offset:712
	global_load_dwordx2 v[54:55], v24, s[4:5] offset:728
	v_mul_i32_i24_e32 v24, 6, v4
	v_lshl_add_u64 v[24:25], v[24:25], 2, s[4:5]
	global_load_dwordx4 v[62:65], v[24:25], off offset:712
	global_load_dwordx2 v[66:67], v[24:25], off offset:728
	s_waitcnt lgkmcnt(2)
	v_lshrrev_b32_e32 v71, 16, v41
	v_lshrrev_b32_e32 v72, 16, v39
	;; [unrolled: 1-line block ×9, first 2 shown]
	s_waitcnt lgkmcnt(0)
	v_lshrrev_b32_e32 v68, 16, v57
	v_lshrrev_b32_e32 v69, 16, v34
	;; [unrolled: 1-line block ×3, first 2 shown]
	s_movk_i32 s9, 0x2b26
	s_mov_b32 s6, 0xbb00
	s_mov_b32 s8, 0xbcab
	s_movk_i32 s7, 0x39e0
	s_mov_b32 s11, 0xb9e0
	s_mov_b32 s12, 0xb574
	s_movk_i32 s13, 0x3574
	s_mov_b32 s10, 0xb70e
	s_waitcnt lgkmcnt(0)
	; wave barrier
	s_waitcnt vmcnt(3)
	v_mul_f16_sdwa v77, v58, v76 dst_sel:DWORD dst_unused:UNUSED_PAD src0_sel:WORD_1 src1_sel:DWORD
	v_mul_f16_sdwa v78, v58, v31 dst_sel:DWORD dst_unused:UNUSED_PAD src0_sel:WORD_1 src1_sel:DWORD
	;; [unrolled: 1-line block ×4, first 2 shown]
	s_waitcnt vmcnt(2)
	v_mul_f16_sdwa v85, v54, v72 dst_sel:DWORD dst_unused:UNUSED_PAD src0_sel:WORD_1 src1_sel:DWORD
	v_mul_f16_sdwa v86, v54, v39 dst_sel:DWORD dst_unused:UNUSED_PAD src0_sel:WORD_1 src1_sel:DWORD
	v_mul_f16_sdwa v87, v55, v71 dst_sel:DWORD dst_unused:UNUSED_PAD src0_sel:WORD_1 src1_sel:DWORD
	v_mul_f16_sdwa v88, v55, v41 dst_sel:DWORD dst_unused:UNUSED_PAD src0_sel:WORD_1 src1_sel:DWORD
	v_mul_f16_sdwa v81, v60, v74 dst_sel:DWORD dst_unused:UNUSED_PAD src0_sel:WORD_1 src1_sel:DWORD
	v_mul_f16_sdwa v82, v60, v35 dst_sel:DWORD dst_unused:UNUSED_PAD src0_sel:WORD_1 src1_sel:DWORD
	v_mul_f16_sdwa v83, v61, v73 dst_sel:DWORD dst_unused:UNUSED_PAD src0_sel:WORD_1 src1_sel:DWORD
	v_mul_f16_sdwa v84, v61, v37 dst_sel:DWORD dst_unused:UNUSED_PAD src0_sel:WORD_1 src1_sel:DWORD
	s_waitcnt vmcnt(1)
	v_mul_f16_sdwa v95, v25, v65 dst_sel:DWORD dst_unused:UNUSED_PAD src0_sel:DWORD src1_sel:WORD_1
	v_mul_f16_sdwa v96, v38, v65 dst_sel:DWORD dst_unused:UNUSED_PAD src0_sel:DWORD src1_sel:WORD_1
	s_waitcnt vmcnt(0)
	v_mul_f16_sdwa v97, v53, v66 dst_sel:DWORD dst_unused:UNUSED_PAD src0_sel:DWORD src1_sel:WORD_1
	v_mul_f16_sdwa v98, v40, v66 dst_sel:DWORD dst_unused:UNUSED_PAD src0_sel:DWORD src1_sel:WORD_1
	v_fma_f16 v31, v58, v31, v77
	v_fma_f16 v58, v58, v76, -v78
	v_fma_f16 v33, v59, v33, v79
	v_fma_f16 v59, v59, v75, -v80
	;; [unrolled: 2-line block ×8, first 2 shown]
	v_add_f16_e32 v65, v31, v41
	v_add_f16_e32 v66, v58, v55
	v_sub_f16_e32 v31, v31, v41
	v_sub_f16_e32 v41, v58, v55
	v_add_f16_e32 v55, v33, v39
	v_add_f16_e32 v58, v59, v54
	v_mul_f16_sdwa v89, v62, v70 dst_sel:DWORD dst_unused:UNUSED_PAD src0_sel:WORD_1 src1_sel:DWORD
	v_mul_f16_sdwa v90, v62, v32 dst_sel:DWORD dst_unused:UNUSED_PAD src0_sel:WORD_1 src1_sel:DWORD
	;; [unrolled: 1-line block ×4, first 2 shown]
	v_mul_f16_sdwa v93, v24, v64 dst_sel:DWORD dst_unused:UNUSED_PAD src0_sel:DWORD src1_sel:WORD_1
	v_mul_f16_sdwa v94, v36, v64 dst_sel:DWORD dst_unused:UNUSED_PAD src0_sel:DWORD src1_sel:WORD_1
	;; [unrolled: 1-line block ×4, first 2 shown]
	v_sub_f16_e32 v33, v33, v39
	v_sub_f16_e32 v39, v59, v54
	v_add_f16_e32 v54, v35, v37
	v_add_f16_e32 v59, v60, v61
	v_sub_f16_e32 v35, v37, v35
	v_sub_f16_e32 v37, v61, v60
	v_add_f16_e32 v60, v55, v65
	v_add_f16_e32 v61, v58, v66
	v_fma_f16 v32, v62, v32, v89
	v_fma_f16 v62, v62, v70, -v90
	v_fma_f16 v34, v63, v34, v91
	v_fma_f16 v63, v63, v69, -v92
	;; [unrolled: 2-line block ×4, first 2 shown]
	v_sub_f16_e32 v67, v55, v65
	v_sub_f16_e32 v68, v58, v66
	;; [unrolled: 1-line block ×6, first 2 shown]
	v_add_f16_e32 v69, v35, v33
	v_add_f16_e32 v70, v37, v39
	v_sub_f16_e32 v71, v35, v33
	v_sub_f16_e32 v72, v37, v39
	;; [unrolled: 1-line block ×4, first 2 shown]
	v_add_f16_e32 v54, v54, v60
	v_add_f16_e32 v59, v59, v61
	v_sub_f16_e32 v35, v31, v35
	v_sub_f16_e32 v37, v41, v37
	v_add_f16_e32 v31, v69, v31
	v_add_f16_e32 v41, v70, v41
	;; [unrolled: 1-line block ×3, first 2 shown]
	v_add_f16_sdwa v30, v59, v30 dst_sel:DWORD dst_unused:UNUSED_PAD src0_sel:DWORD src1_sel:WORD_1
	v_mul_f16_e32 v61, 0x3a52, v65
	v_mul_f16_e32 v65, 0x3a52, v66
	;; [unrolled: 1-line block ×8, first 2 shown]
	v_fma_f16 v54, v54, s8, v60
	v_fma_f16 v59, v59, s8, v30
	;; [unrolled: 1-line block ×4, first 2 shown]
	v_fma_f16 v66, v67, s7, -v66
	v_fma_f16 v69, v68, s7, -v69
	;; [unrolled: 1-line block ×4, first 2 shown]
	v_fma_f16 v67, v35, s12, v70
	v_fma_f16 v68, v37, s12, v71
	v_fma_f16 v33, v33, s6, -v70
	v_fma_f16 v35, v35, s13, -v72
	;; [unrolled: 1-line block ×4, first 2 shown]
	v_add_f16_e32 v55, v55, v54
	v_add_f16_e32 v58, v58, v59
	;; [unrolled: 1-line block ×6, first 2 shown]
	v_fma_f16 v61, v31, s10, v67
	v_fma_f16 v65, v41, s10, v68
	;; [unrolled: 1-line block ×6, first 2 shown]
	v_add_f16_e32 v37, v65, v55
	v_sub_f16_e32 v41, v58, v61
	v_add_f16_e32 v67, v35, v54
	v_sub_f16_e32 v68, v59, v31
	v_sub_f16_e32 v35, v54, v35
	v_add_f16_e32 v31, v31, v59
	v_sub_f16_e32 v54, v55, v65
	v_add_f16_e32 v55, v61, v58
	v_add_f16_e32 v58, v32, v57
	;; [unrolled: 1-line block ×3, first 2 shown]
	v_sub_f16_e32 v32, v32, v57
	v_sub_f16_e32 v57, v62, v64
	v_add_f16_e32 v61, v34, v40
	v_add_f16_e32 v62, v63, v53
	v_sub_f16_e32 v34, v34, v40
	v_sub_f16_e32 v40, v63, v53
	v_add_f16_e32 v53, v36, v38
	v_add_f16_e32 v63, v24, v25
	;; [unrolled: 4-line block ×3, first 2 shown]
	v_sub_f16_e32 v70, v66, v39
	v_add_f16_e32 v71, v33, v69
	v_add_f16_e32 v39, v39, v66
	v_sub_f16_e32 v33, v69, v33
	v_sub_f16_e32 v64, v61, v58
	;; [unrolled: 1-line block ×7, first 2 shown]
	v_add_f16_e32 v66, v36, v34
	v_add_f16_e32 v69, v24, v40
	v_sub_f16_e32 v72, v36, v34
	v_sub_f16_e32 v73, v24, v40
	v_add_f16_e32 v25, v53, v25
	v_add_f16_e32 v38, v63, v38
	v_sub_f16_e32 v36, v32, v36
	v_sub_f16_e32 v24, v57, v24
	;; [unrolled: 1-line block ×4, first 2 shown]
	v_add_f16_e32 v32, v66, v32
	v_add_f16_e32 v53, v69, v57
	;; [unrolled: 1-line block ×3, first 2 shown]
	v_add_f16_sdwa v56, v38, v56 dst_sel:DWORD dst_unused:UNUSED_PAD src0_sel:DWORD src1_sel:WORD_1
	v_mul_f16_e32 v58, 0x3a52, v58
	v_mul_f16_e32 v59, 0x3a52, v59
	;; [unrolled: 1-line block ×6, first 2 shown]
	v_pack_b32_f16 v30, v60, v30
	v_pack_b32_f16 v37, v37, v41
	v_mul_f16_e32 v73, 0xbb00, v34
	v_mul_f16_e32 v74, 0xbb00, v40
	v_fma_f16 v25, v25, s8, v57
	v_fma_f16 v38, v38, s8, v56
	;; [unrolled: 1-line block ×4, first 2 shown]
	v_fma_f16 v63, v64, s7, -v63
	v_fma_f16 v66, v65, s7, -v66
	;; [unrolled: 1-line block ×4, first 2 shown]
	v_fma_f16 v64, v36, s12, v69
	v_fma_f16 v65, v24, s12, v72
	ds_write2_b32 v42, v30, v37 offset1:180
	v_pack_b32_f16 v30, v67, v68
	v_pack_b32_f16 v37, v70, v71
	v_add_u32_e32 v41, 0x500, v42
	v_fma_f16 v34, v34, s6, -v69
	v_fma_f16 v40, v40, s6, -v72
	;; [unrolled: 1-line block ×4, first 2 shown]
	v_add_f16_e32 v61, v61, v25
	v_add_f16_e32 v62, v62, v38
	;; [unrolled: 1-line block ×6, first 2 shown]
	v_fma_f16 v58, v32, s10, v64
	v_fma_f16 v59, v53, s10, v65
	ds_write2_b32 v41, v30, v37 offset0:40 offset1:220
	v_pack_b32_f16 v30, v39, v33
	v_pack_b32_f16 v31, v35, v31
	v_add_u32_e32 v33, 0xb00, v42
	v_fma_f16 v34, v32, s10, v34
	v_fma_f16 v40, v53, s10, v40
	;; [unrolled: 1-line block ×4, first 2 shown]
	v_add_f16_e32 v36, v59, v61
	v_sub_f16_e32 v53, v62, v58
	ds_write2_b32 v33, v30, v31 offset0:16 offset1:196
	v_pack_b32_f16 v30, v54, v55
	v_add_f16_e32 v64, v24, v25
	v_sub_f16_e32 v65, v38, v32
	v_sub_f16_e32 v69, v63, v40
	v_add_f16_e32 v72, v34, v66
	ds_write_b32 v42, v30 offset:4320
	v_pack_b32_f16 v30, v57, v56
	v_pack_b32_f16 v31, v36, v53
	v_add_f16_e32 v40, v40, v63
	v_sub_f16_e32 v34, v66, v34
	v_sub_f16_e32 v24, v25, v24
	v_add_f16_e32 v25, v32, v38
	ds_write2_b32 v50, v30, v31 offset1:180
	v_pack_b32_f16 v30, v64, v65
	v_pack_b32_f16 v31, v69, v72
	v_add_u32_e32 v33, 0x500, v50
	v_sub_f16_e32 v32, v61, v59
	v_add_f16_e32 v38, v58, v62
	ds_write2_b32 v33, v30, v31 offset0:40 offset1:220
	v_pack_b32_f16 v30, v40, v34
	v_pack_b32_f16 v24, v24, v25
	v_add_u32_e32 v25, 0xb00, v50
	ds_write2_b32 v25, v30, v24 offset0:16 offset1:196
	v_pack_b32_f16 v24, v32, v38
	ds_write_b32 v50, v24 offset:4320
	s_and_saveexec_b64 s[2:3], vcc
	s_cbranch_execz .LBB0_25
; %bb.24:
	v_subrev_u32_e32 v24, 54, v0
	v_cndmask_b32_e32 v24, v24, v20, vcc
	v_mul_i32_i24_e32 v24, 6, v24
	v_mov_b32_e32 v25, 0
	v_lshl_add_u64 v[24:25], v[24:25], 2, s[4:5]
	global_load_dwordx4 v[30:33], v[24:25], off offset:712
	global_load_dwordx2 v[34:35], v[24:25], off offset:728
	s_waitcnt vmcnt(1)
	v_mul_f16_sdwa v24, v15, v30 dst_sel:DWORD dst_unused:UNUSED_PAD src0_sel:DWORD src1_sel:WORD_1
	s_waitcnt vmcnt(0)
	v_mul_f16_sdwa v25, v9, v35 dst_sel:DWORD dst_unused:UNUSED_PAD src0_sel:DWORD src1_sel:WORD_1
	v_mul_f16_sdwa v38, v17, v31 dst_sel:DWORD dst_unused:UNUSED_PAD src0_sel:DWORD src1_sel:WORD_1
	;; [unrolled: 1-line block ×11, first 2 shown]
	v_fma_f16 v24, v26, v30, v24
	v_fma_f16 v23, v23, v35, v25
	;; [unrolled: 1-line block ×4, first 2 shown]
	v_fma_f16 v9, v9, v35, -v40
	v_fma_f16 v15, v15, v30, -v41
	;; [unrolled: 1-line block ×4, first 2 shown]
	v_fma_f16 v25, v29, v33, v36
	v_fma_f16 v26, v28, v32, v37
	v_fma_f16 v21, v21, v32, -v53
	v_fma_f16 v28, v52, v33, -v54
	v_sub_f16_e32 v29, v24, v23
	v_sub_f16_e32 v31, v27, v22
	v_add_f16_e32 v32, v15, v9
	v_add_f16_e32 v34, v17, v19
	;; [unrolled: 1-line block ×4, first 2 shown]
	v_sub_f16_e32 v30, v25, v26
	v_add_f16_e32 v33, v21, v28
	v_add_f16_e32 v24, v26, v25
	v_sub_f16_e32 v9, v15, v9
	v_sub_f16_e32 v15, v28, v21
	;; [unrolled: 1-line block ×3, first 2 shown]
	v_add_f16_e32 v28, v34, v32
	v_add_f16_e32 v36, v22, v23
	v_sub_f16_e32 v19, v29, v30
	v_sub_f16_e32 v21, v30, v31
	v_add_f16_e32 v25, v30, v31
	v_sub_f16_e32 v26, v32, v33
	v_sub_f16_e32 v30, v23, v24
	;; [unrolled: 1-line block ×5, first 2 shown]
	v_add_f16_e32 v15, v15, v17
	v_sub_f16_e32 v31, v31, v29
	v_sub_f16_e32 v17, v17, v9
	v_add_f16_e32 v28, v33, v28
	v_add_f16_e32 v24, v24, v36
	v_sub_f16_e32 v27, v33, v34
	v_sub_f16_e32 v32, v34, v32
	;; [unrolled: 1-line block ×3, first 2 shown]
	v_mul_f16_e32 v21, 0x3846, v21
	v_add_f16_e32 v23, v25, v29
	v_mul_f16_e32 v25, 0x3a52, v26
	v_mul_f16_e32 v29, 0x3a52, v30
	;; [unrolled: 1-line block ×3, first 2 shown]
	v_add_f16_e32 v9, v15, v9
	v_mul_f16_e32 v15, 0xbb00, v31
	v_mul_f16_e32 v34, 0xbb00, v17
	v_add_f16_e32 v13, v13, v28
	v_add_f16_e32 v11, v11, v24
	v_mul_f16_e32 v26, 0x2b26, v27
	v_mul_f16_e32 v30, 0x2b26, v35
	v_fma_f16 v36, v19, s12, v21
	v_fma_f16 v27, v27, s9, v25
	;; [unrolled: 1-line block ×4, first 2 shown]
	v_fma_f16 v15, v19, s13, -v15
	v_fma_f16 v19, v32, s11, -v25
	;; [unrolled: 1-line block ×4, first 2 shown]
	v_fma_f16 v28, v28, s8, v13
	v_fma_f16 v24, v24, s8, v11
	v_fma_f16 v17, v17, s6, -v33
	v_fma_f16 v34, v23, s10, v36
	v_fma_f16 v36, v9, s10, v38
	;; [unrolled: 1-line block ×3, first 2 shown]
	v_add_f16_e32 v27, v27, v28
	v_add_f16_e32 v35, v35, v24
	v_add_f16_e32 v19, v19, v28
	v_fma_f16 v29, v9, s10, v29
	v_fma_f16 v26, v32, s7, -v26
	v_fma_f16 v21, v31, s6, -v21
	v_fma_f16 v9, v9, s10, v17
	v_fma_f16 v17, v22, s7, -v30
	v_add_f16_e32 v25, v25, v24
	v_add_f16_e32 v39, v15, v19
	v_add_f16_e32 v26, v26, v28
	v_fma_f16 v21, v23, s10, v21
	v_add_f16_e32 v17, v17, v24
	v_sub_f16_e32 v15, v19, v15
	v_sub_f16_e32 v19, v27, v34
	v_add_f16_e32 v24, v36, v35
	v_sub_f16_e32 v23, v26, v21
	v_add_f16_e32 v22, v9, v17
	v_add_f16_e32 v21, v21, v26
	v_sub_f16_e32 v9, v17, v9
	v_add_f16_e32 v17, v29, v25
	v_pack_b32_f16 v11, v11, v13
	v_pack_b32_f16 v13, v24, v19
	v_add_u32_e32 v19, 0x100, v42
	v_sub_f16_e32 v40, v25, v29
	ds_write2_b32 v19, v11, v13 offset0:62 offset1:242
	v_pack_b32_f16 v11, v17, v15
	v_pack_b32_f16 v9, v9, v21
	v_add_u32_e32 v13, 0x700, v42
	v_add_f16_e32 v37, v34, v27
	v_sub_f16_e32 v38, v35, v36
	ds_write2_b32 v13, v11, v9 offset0:38 offset1:218
	v_pack_b32_f16 v9, v22, v23
	v_pack_b32_f16 v11, v40, v39
	v_add_u32_e32 v13, 0xd00, v42
	ds_write2_b32 v13, v9, v11 offset0:14 offset1:194
	v_pack_b32_f16 v9, v38, v37
	ds_write_b32 v42, v9 offset:4824
.LBB0_25:
	s_or_b64 exec, exec, s[2:3]
	s_waitcnt lgkmcnt(0)
	; wave barrier
	s_waitcnt lgkmcnt(0)
	ds_read_b32 v15, v42
	s_add_u32 s2, s4, 0x13a8
	s_addc_u32 s3, s5, 0
	v_sub_u32_e32 v22, 0, v1
	v_cmp_ne_u32_e32 vcc, 0, v0
                                        ; implicit-def: $vgpr13
                                        ; implicit-def: $vgpr9
                                        ; implicit-def: $vgpr11
	s_and_saveexec_b64 s[4:5], vcc
	s_xor_b64 s[4:5], exec, s[4:5]
	s_cbranch_execz .LBB0_27
; %bb.26:
	v_mov_b32_e32 v1, 0
	v_lshl_add_u64 v[24:25], v[0:1], 2, s[2:3]
	global_load_dword v1, v[24:25], off
	ds_read_b32 v9, v22 offset:5040
	s_mov_b32 s6, 0xffff
	s_waitcnt lgkmcnt(0)
	v_pk_add_f16 v11, v15, v9 neg_lo:[0,1] neg_hi:[0,1]
	v_pk_add_f16 v9, v9, v15
	s_nop 0
	v_bfi_b32 v13, s6, v11, v9
	v_bfi_b32 v9, s6, v9, v11
	v_pk_mul_f16 v11, v13, 0.5 op_sel_hi:[1,0]
	v_pk_mul_f16 v13, v9, 0.5 op_sel_hi:[1,0]
	s_waitcnt vmcnt(0)
	v_pk_mul_f16 v15, v1, v11 op_sel:[1,0]
	v_pk_mul_f16 v1, v1, v11 op_sel_hi:[0,1]
	v_pk_fma_f16 v9, v9, 0.5, v15 op_sel_hi:[1,0,1]
	v_sub_f16_e32 v11, v13, v15
	v_sub_f16_sdwa v15, v15, v13 dst_sel:DWORD dst_unused:UNUSED_PAD src0_sel:WORD_1 src1_sel:WORD_1
	v_pk_add_f16 v13, v9, v1 op_sel:[0,1] op_sel_hi:[1,0]
	v_pk_add_f16 v17, v9, v1 op_sel:[0,1] op_sel_hi:[1,0] neg_lo:[0,1] neg_hi:[0,1]
	v_sub_f16_sdwa v9, v11, v1 dst_sel:DWORD dst_unused:UNUSED_PAD src0_sel:DWORD src1_sel:WORD_1
	v_bfi_b32 v13, s6, v13, v17
	v_sub_f16_e32 v11, v15, v1
                                        ; implicit-def: $vgpr15
.LBB0_27:
	s_or_saveexec_b64 s[4:5], s[4:5]
	v_sub_u32_e32 v23, 0, v5
	v_sub_u32_e32 v1, 0, v7
	s_xor_b64 exec, exec, s[4:5]
	s_cbranch_execz .LBB0_29
; %bb.28:
	v_mov_b32_e32 v11, 0
	ds_read_u16 v5, v11 offset:2522
	s_waitcnt lgkmcnt(1)
	v_alignbit_b32 v7, s0, v15, 16
	v_pk_add_f16 v7, v7, v15
	v_sub_f16_sdwa v9, v15, v15 dst_sel:DWORD dst_unused:UNUSED_PAD src0_sel:DWORD src1_sel:WORD_1
	v_pack_b32_f16 v13, v7, 0
	s_waitcnt lgkmcnt(0)
	v_xor_b32_e32 v5, 0x8000, v5
	ds_write_b16 v11, v5 offset:2522
.LBB0_29:
	s_or_b64 exec, exec, s[4:5]
	v_mov_b32_e32 v5, 0
	v_lshl_add_u64 v[24:25], v[4:5], 2, s[2:3]
	global_load_dword v4, v[24:25], off
	v_mov_b32_e32 v21, v5
	v_lshl_add_u64 v[20:21], v[20:21], 2, s[2:3]
	global_load_dword v7, v[20:21], off
	;; [unrolled: 3-line block ×3, first 2 shown]
	ds_write_b16 v22, v11 offset:5042
	ds_write_b32 v42, v13
	ds_write_b16 v22, v9 offset:5040
	v_mov_b32_e32 v9, v5
	v_mov_b32_e32 v17, v5
	;; [unrolled: 1-line block ×4, first 2 shown]
	s_waitcnt lgkmcnt(3)
	v_mov_b32_e32 v15, v5
	v_lshl_add_u64 v[8:9], v[8:9], 2, s[2:3]
	ds_read_b32 v19, v50
	ds_read_b32 v20, v22 offset:4788
	v_lshl_add_u64 v[16:17], v[16:17], 2, s[2:3]
	v_lshl_add_u64 v[10:11], v[10:11], 2, s[2:3]
	;; [unrolled: 1-line block ×4, first 2 shown]
	global_load_dword v21, v[8:9], off
	global_load_dword v24, v[16:17], off
	global_load_dword v25, v[10:11], off
	global_load_dword v26, v[12:13], off
	global_load_dword v27, v[14:15], off
	s_mov_b32 s4, 0xffff
	s_waitcnt lgkmcnt(0)
	v_pk_add_f16 v8, v19, v20 neg_lo:[0,1] neg_hi:[0,1]
	v_pk_add_f16 v9, v19, v20
	v_add_u32_e32 v1, v43, v1
	v_bfi_b32 v10, s4, v8, v9
	v_bfi_b32 v8, s4, v9, v8
	v_pk_mul_f16 v9, v10, 0.5 op_sel_hi:[1,0]
	v_pk_mul_f16 v8, v8, 0.5 op_sel_hi:[1,0]
	s_waitcnt vmcnt(7)
	v_pk_mul_f16 v11, v4, v9 op_sel_hi:[0,1]
	v_pk_fma_f16 v10, v4, v9, v8 op_sel:[1,0,0]
	v_pk_fma_f16 v12, v4, v9, v8 op_sel:[1,0,0] neg_lo:[1,0,0] neg_hi:[1,0,0]
	v_pk_fma_f16 v4, v4, v9, v8 op_sel:[1,0,0] neg_lo:[0,0,1] neg_hi:[0,0,1]
	v_pk_add_f16 v8, v10, v11 op_sel:[0,1] op_sel_hi:[1,0]
	v_pk_add_f16 v9, v10, v11 op_sel:[0,1] op_sel_hi:[1,0] neg_lo:[0,1] neg_hi:[0,1]
	v_pk_add_f16 v10, v12, v11 op_sel:[0,1] op_sel_hi:[1,0] neg_lo:[0,1] neg_hi:[0,1]
	v_pk_add_f16 v4, v4, v11 op_sel:[0,1] op_sel_hi:[1,0] neg_lo:[0,1] neg_hi:[0,1]
	v_bfi_b32 v8, s4, v8, v9
	v_bfi_b32 v4, s4, v10, v4
	ds_write_b32 v50, v8
	ds_write_b32 v22, v4 offset:4788
	ds_read_b32 v4, v49
	ds_read_b32 v8, v22 offset:4536
	s_waitcnt lgkmcnt(0)
	v_pk_add_f16 v9, v4, v8 neg_lo:[0,1] neg_hi:[0,1]
	v_pk_add_f16 v4, v4, v8
	s_nop 0
	v_bfi_b32 v8, s4, v9, v4
	v_bfi_b32 v4, s4, v4, v9
	v_pk_mul_f16 v8, v8, 0.5 op_sel_hi:[1,0]
	v_pk_mul_f16 v4, v4, 0.5 op_sel_hi:[1,0]
	s_waitcnt vmcnt(6)
	v_pk_mul_f16 v10, v7, v8 op_sel_hi:[0,1]
	v_pk_fma_f16 v9, v7, v8, v4 op_sel:[1,0,0]
	v_pk_fma_f16 v11, v7, v8, v4 op_sel:[1,0,0] neg_lo:[1,0,0] neg_hi:[1,0,0]
	v_pk_fma_f16 v4, v7, v8, v4 op_sel:[1,0,0] neg_lo:[0,0,1] neg_hi:[0,0,1]
	v_pk_add_f16 v7, v9, v10 op_sel:[0,1] op_sel_hi:[1,0]
	v_pk_add_f16 v8, v9, v10 op_sel:[0,1] op_sel_hi:[1,0] neg_lo:[0,1] neg_hi:[0,1]
	v_pk_add_f16 v9, v11, v10 op_sel:[0,1] op_sel_hi:[1,0] neg_lo:[0,1] neg_hi:[0,1]
	v_pk_add_f16 v4, v4, v10 op_sel:[0,1] op_sel_hi:[1,0] neg_lo:[0,1] neg_hi:[0,1]
	v_bfi_b32 v7, s4, v7, v8
	v_bfi_b32 v4, s4, v9, v4
	ds_write_b32 v49, v7
	ds_write_b32 v22, v4 offset:4536
	ds_read_b32 v4, v48
	ds_read_b32 v7, v22 offset:4284
	s_waitcnt lgkmcnt(0)
	v_pk_add_f16 v8, v4, v7 neg_lo:[0,1] neg_hi:[0,1]
	v_pk_add_f16 v4, v4, v7
	s_nop 0
	;; [unrolled: 23-line block ×4, first 2 shown]
	v_bfi_b32 v7, s4, v8, v4
	v_bfi_b32 v4, s4, v4, v8
	v_pk_mul_f16 v7, v7, 0.5 op_sel_hi:[1,0]
	v_pk_mul_f16 v4, v4, 0.5 op_sel_hi:[1,0]
	s_waitcnt vmcnt(3)
	v_pk_mul_f16 v9, v24, v7 op_sel_hi:[0,1]
	v_pk_fma_f16 v8, v24, v7, v4 op_sel:[1,0,0]
	v_pk_fma_f16 v10, v24, v7, v4 op_sel:[1,0,0] neg_lo:[1,0,0] neg_hi:[1,0,0]
	v_pk_fma_f16 v4, v24, v7, v4 op_sel:[1,0,0] neg_lo:[0,0,1] neg_hi:[0,0,1]
	v_pk_add_f16 v7, v8, v9 op_sel:[0,1] op_sel_hi:[1,0]
	v_pk_add_f16 v8, v8, v9 op_sel:[0,1] op_sel_hi:[1,0] neg_lo:[0,1] neg_hi:[0,1]
	v_pk_add_f16 v10, v10, v9 op_sel:[0,1] op_sel_hi:[1,0] neg_lo:[0,1] neg_hi:[0,1]
	;; [unrolled: 1-line block ×3, first 2 shown]
	v_bfi_b32 v7, s4, v7, v8
	v_bfi_b32 v4, s4, v10, v4
	ds_write_b32 v46, v7
	ds_write_b32 v22, v4 offset:3780
	v_mov_b32_e32 v7, v5
	v_lshl_add_u64 v[6:7], v[6:7], 2, s[2:3]
	ds_read_b32 v4, v45
	ds_read_b32 v8, v22 offset:3528
	global_load_dword v6, v[6:7], off
	s_waitcnt lgkmcnt(0)
	v_pk_add_f16 v7, v4, v8 neg_lo:[0,1] neg_hi:[0,1]
	v_pk_add_f16 v4, v4, v8
	s_nop 0
	v_bfi_b32 v8, s4, v7, v4
	v_bfi_b32 v4, s4, v4, v7
	v_pk_mul_f16 v7, v8, 0.5 op_sel_hi:[1,0]
	v_pk_mul_f16 v4, v4, 0.5 op_sel_hi:[1,0]
	s_waitcnt vmcnt(3)
	v_pk_mul_f16 v9, v25, v7 op_sel_hi:[0,1]
	v_pk_fma_f16 v8, v25, v7, v4 op_sel:[1,0,0]
	v_pk_fma_f16 v10, v25, v7, v4 op_sel:[1,0,0] neg_lo:[1,0,0] neg_hi:[1,0,0]
	v_pk_fma_f16 v4, v25, v7, v4 op_sel:[1,0,0] neg_lo:[0,0,1] neg_hi:[0,0,1]
	v_pk_add_f16 v11, v8, v9 op_sel:[0,1] op_sel_hi:[1,0]
	v_pk_add_f16 v8, v8, v9 op_sel:[0,1] op_sel_hi:[1,0] neg_lo:[0,1] neg_hi:[0,1]
	v_pk_add_f16 v10, v10, v9 op_sel:[0,1] op_sel_hi:[1,0] neg_lo:[0,1] neg_hi:[0,1]
	;; [unrolled: 1-line block ×3, first 2 shown]
	v_bfi_b32 v8, s4, v11, v8
	v_bfi_b32 v4, s4, v10, v4
	ds_write_b32 v45, v8
	ds_write_b32 v22, v4 offset:3528
	v_add_u32_e32 v4, v44, v23
	ds_read_b32 v7, v4
	ds_read_b32 v8, v22 offset:3276
	s_waitcnt lgkmcnt(0)
	v_pk_add_f16 v9, v7, v8 neg_lo:[0,1] neg_hi:[0,1]
	v_pk_add_f16 v7, v7, v8
	s_nop 0
	v_bfi_b32 v8, s4, v9, v7
	v_bfi_b32 v7, s4, v7, v9
	v_pk_mul_f16 v8, v8, 0.5 op_sel_hi:[1,0]
	v_pk_mul_f16 v7, v7, 0.5 op_sel_hi:[1,0]
	s_waitcnt vmcnt(2)
	v_pk_mul_f16 v10, v26, v8 op_sel_hi:[0,1]
	v_pk_fma_f16 v9, v26, v8, v7 op_sel:[1,0,0]
	s_nop 0
	v_pk_add_f16 v11, v9, v10 op_sel:[0,1] op_sel_hi:[1,0]
	v_pk_add_f16 v9, v9, v10 op_sel:[0,1] op_sel_hi:[1,0] neg_lo:[0,1] neg_hi:[0,1]
	s_nop 0
	v_bfi_b32 v9, s4, v11, v9
	v_pk_fma_f16 v11, v26, v8, v7 op_sel:[1,0,0] neg_lo:[1,0,0] neg_hi:[1,0,0]
	v_pk_fma_f16 v7, v26, v8, v7 op_sel:[1,0,0] neg_lo:[0,0,1] neg_hi:[0,0,1]
	v_pk_add_f16 v11, v11, v10 op_sel:[0,1] op_sel_hi:[1,0] neg_lo:[0,1] neg_hi:[0,1]
	v_pk_add_f16 v7, v7, v10 op_sel:[0,1] op_sel_hi:[1,0] neg_lo:[0,1] neg_hi:[0,1]
	ds_write_b32 v4, v9
	v_bfi_b32 v4, s4, v11, v7
	ds_write_b32 v22, v4 offset:3276
	ds_read_b32 v4, v51
	ds_read_b32 v7, v22 offset:3024
	s_waitcnt lgkmcnt(0)
	v_pk_add_f16 v8, v4, v7 neg_lo:[0,1] neg_hi:[0,1]
	v_pk_add_f16 v4, v4, v7
	s_nop 0
	v_bfi_b32 v7, s4, v8, v4
	v_bfi_b32 v4, s4, v4, v8
	v_pk_mul_f16 v7, v7, 0.5 op_sel_hi:[1,0]
	v_pk_mul_f16 v4, v4, 0.5 op_sel_hi:[1,0]
	s_waitcnt vmcnt(1)
	v_pk_mul_f16 v9, v27, v7 op_sel_hi:[0,1]
	v_pk_fma_f16 v8, v27, v7, v4 op_sel:[1,0,0]
	s_nop 0
	v_pk_add_f16 v10, v8, v9 op_sel:[0,1] op_sel_hi:[1,0]
	v_pk_add_f16 v8, v8, v9 op_sel:[0,1] op_sel_hi:[1,0] neg_lo:[0,1] neg_hi:[0,1]
	s_nop 0
	v_bfi_b32 v8, s4, v10, v8
	v_pk_fma_f16 v10, v27, v7, v4 op_sel:[1,0,0] neg_lo:[1,0,0] neg_hi:[1,0,0]
	v_pk_fma_f16 v4, v27, v7, v4 op_sel:[1,0,0] neg_lo:[0,0,1] neg_hi:[0,0,1]
	v_pk_add_f16 v10, v10, v9 op_sel:[0,1] op_sel_hi:[1,0] neg_lo:[0,1] neg_hi:[0,1]
	v_pk_add_f16 v4, v4, v9 op_sel:[0,1] op_sel_hi:[1,0] neg_lo:[0,1] neg_hi:[0,1]
	ds_write_b32 v51, v8
	v_bfi_b32 v4, s4, v10, v4
	ds_write_b32 v22, v4 offset:3024
	;; [unrolled: 25-line block ×3, first 2 shown]
	s_waitcnt lgkmcnt(0)
	; wave barrier
	s_waitcnt lgkmcnt(0)
	s_and_saveexec_b64 s[2:3], s[0:1]
	s_cbranch_execz .LBB0_32
; %bb.30:
	v_mov_b32_e32 v1, v5
	ds_read2_b32 v[4:5], v42 offset1:63
	ds_read2_b32 v[8:9], v42 offset0:126 offset1:189
	v_lshl_add_u64 v[6:7], v[0:1], 2, v[2:3]
	v_add_u32_e32 v1, 0x200, v42
	ds_read2_b32 v[10:11], v1 offset0:124 offset1:187
	s_waitcnt lgkmcnt(2)
	global_store_dword v[6:7], v4, off
	global_store_dword v[6:7], v5, off offset:252
	s_waitcnt lgkmcnt(1)
	global_store_dword v[6:7], v8, off offset:504
	global_store_dword v[6:7], v9, off offset:756
	s_waitcnt lgkmcnt(0)
	global_store_dword v[6:7], v10, off offset:1008
	global_store_dword v[6:7], v11, off offset:1260
	v_add_u32_e32 v1, 0x400, v42
	ds_read2_b32 v[4:5], v1 offset0:122 offset1:185
	v_add_u32_e32 v1, 0x600, v42
	ds_read2_b32 v[8:9], v1 offset0:120 offset1:183
	;; [unrolled: 2-line block ×3, first 2 shown]
	s_waitcnt lgkmcnt(2)
	global_store_dword v[6:7], v4, off offset:1512
	global_store_dword v[6:7], v5, off offset:1764
	s_waitcnt lgkmcnt(1)
	global_store_dword v[6:7], v8, off offset:2016
	global_store_dword v[6:7], v9, off offset:2268
	;; [unrolled: 3-line block ×3, first 2 shown]
	v_add_u32_e32 v1, 0xa00, v42
	ds_read2_b32 v[4:5], v1 offset0:116 offset1:179
	v_add_u32_e32 v1, 0xc00, v42
	ds_read2_b32 v[8:9], v1 offset0:114 offset1:177
	;; [unrolled: 2-line block ×3, first 2 shown]
	s_waitcnt lgkmcnt(2)
	global_store_dword v[6:7], v4, off offset:3024
	global_store_dword v[6:7], v5, off offset:3276
	s_waitcnt lgkmcnt(1)
	global_store_dword v[6:7], v8, off offset:3528
	global_store_dword v[6:7], v9, off offset:3780
	s_waitcnt lgkmcnt(0)
	global_store_dword v[6:7], v10, off offset:4032
	v_add_u32_e32 v1, 0x1000, v42
	ds_read2_b32 v[8:9], v1 offset0:110 offset1:173
	v_add_co_u32_e32 v4, vcc, 0x1000, v6
	s_nop 1
	v_addc_co_u32_e32 v5, vcc, 0, v7, vcc
	v_cmp_eq_u32_e32 vcc, 62, v0
	global_store_dword v[4:5], v11, off offset:188
	s_waitcnt lgkmcnt(0)
	global_store_dword v[4:5], v8, off offset:440
	global_store_dword v[4:5], v9, off offset:692
	s_and_b64 exec, exec, vcc
	s_cbranch_execz .LBB0_32
; %bb.31:
	v_mov_b32_e32 v0, 0
	ds_read_b32 v4, v0 offset:5040
	v_add_co_u32_e32 v0, vcc, 0x1000, v2
	s_nop 1
	v_addc_co_u32_e32 v1, vcc, 0, v3, vcc
	s_waitcnt lgkmcnt(0)
	global_store_dword v[0:1], v4, off offset:944
.LBB0_32:
	s_endpgm
	.section	.rodata,"a",@progbits
	.p2align	6, 0x0
	.amdhsa_kernel fft_rtc_back_len1260_factors_2_2_3_3_5_7_wgs_63_tpt_63_halfLds_half_ip_CI_unitstride_sbrr_R2C_dirReg
		.amdhsa_group_segment_fixed_size 0
		.amdhsa_private_segment_fixed_size 0
		.amdhsa_kernarg_size 88
		.amdhsa_user_sgpr_count 2
		.amdhsa_user_sgpr_dispatch_ptr 0
		.amdhsa_user_sgpr_queue_ptr 0
		.amdhsa_user_sgpr_kernarg_segment_ptr 1
		.amdhsa_user_sgpr_dispatch_id 0
		.amdhsa_user_sgpr_kernarg_preload_length 0
		.amdhsa_user_sgpr_kernarg_preload_offset 0
		.amdhsa_user_sgpr_private_segment_size 0
		.amdhsa_uses_dynamic_stack 0
		.amdhsa_enable_private_segment 0
		.amdhsa_system_sgpr_workgroup_id_x 1
		.amdhsa_system_sgpr_workgroup_id_y 0
		.amdhsa_system_sgpr_workgroup_id_z 0
		.amdhsa_system_sgpr_workgroup_info 0
		.amdhsa_system_vgpr_workitem_id 0
		.amdhsa_next_free_vgpr 113
		.amdhsa_next_free_sgpr 22
		.amdhsa_accum_offset 116
		.amdhsa_reserve_vcc 1
		.amdhsa_float_round_mode_32 0
		.amdhsa_float_round_mode_16_64 0
		.amdhsa_float_denorm_mode_32 3
		.amdhsa_float_denorm_mode_16_64 3
		.amdhsa_dx10_clamp 1
		.amdhsa_ieee_mode 1
		.amdhsa_fp16_overflow 0
		.amdhsa_tg_split 0
		.amdhsa_exception_fp_ieee_invalid_op 0
		.amdhsa_exception_fp_denorm_src 0
		.amdhsa_exception_fp_ieee_div_zero 0
		.amdhsa_exception_fp_ieee_overflow 0
		.amdhsa_exception_fp_ieee_underflow 0
		.amdhsa_exception_fp_ieee_inexact 0
		.amdhsa_exception_int_div_zero 0
	.end_amdhsa_kernel
	.text
.Lfunc_end0:
	.size	fft_rtc_back_len1260_factors_2_2_3_3_5_7_wgs_63_tpt_63_halfLds_half_ip_CI_unitstride_sbrr_R2C_dirReg, .Lfunc_end0-fft_rtc_back_len1260_factors_2_2_3_3_5_7_wgs_63_tpt_63_halfLds_half_ip_CI_unitstride_sbrr_R2C_dirReg
                                        ; -- End function
	.section	.AMDGPU.csdata,"",@progbits
; Kernel info:
; codeLenInByte = 15304
; NumSgprs: 28
; NumVgprs: 113
; NumAgprs: 0
; TotalNumVgprs: 113
; ScratchSize: 0
; MemoryBound: 0
; FloatMode: 240
; IeeeMode: 1
; LDSByteSize: 0 bytes/workgroup (compile time only)
; SGPRBlocks: 3
; VGPRBlocks: 14
; NumSGPRsForWavesPerEU: 28
; NumVGPRsForWavesPerEU: 113
; AccumOffset: 116
; Occupancy: 4
; WaveLimiterHint : 1
; COMPUTE_PGM_RSRC2:SCRATCH_EN: 0
; COMPUTE_PGM_RSRC2:USER_SGPR: 2
; COMPUTE_PGM_RSRC2:TRAP_HANDLER: 0
; COMPUTE_PGM_RSRC2:TGID_X_EN: 1
; COMPUTE_PGM_RSRC2:TGID_Y_EN: 0
; COMPUTE_PGM_RSRC2:TGID_Z_EN: 0
; COMPUTE_PGM_RSRC2:TIDIG_COMP_CNT: 0
; COMPUTE_PGM_RSRC3_GFX90A:ACCUM_OFFSET: 28
; COMPUTE_PGM_RSRC3_GFX90A:TG_SPLIT: 0
	.text
	.p2alignl 6, 3212836864
	.fill 256, 4, 3212836864
	.type	__hip_cuid_623fa5c0cf6ee3f,@object ; @__hip_cuid_623fa5c0cf6ee3f
	.section	.bss,"aw",@nobits
	.globl	__hip_cuid_623fa5c0cf6ee3f
__hip_cuid_623fa5c0cf6ee3f:
	.byte	0                               ; 0x0
	.size	__hip_cuid_623fa5c0cf6ee3f, 1

	.ident	"AMD clang version 19.0.0git (https://github.com/RadeonOpenCompute/llvm-project roc-6.4.0 25133 c7fe45cf4b819c5991fe208aaa96edf142730f1d)"
	.section	".note.GNU-stack","",@progbits
	.addrsig
	.addrsig_sym __hip_cuid_623fa5c0cf6ee3f
	.amdgpu_metadata
---
amdhsa.kernels:
  - .agpr_count:     0
    .args:
      - .actual_access:  read_only
        .address_space:  global
        .offset:         0
        .size:           8
        .value_kind:     global_buffer
      - .offset:         8
        .size:           8
        .value_kind:     by_value
      - .actual_access:  read_only
        .address_space:  global
        .offset:         16
        .size:           8
        .value_kind:     global_buffer
      - .actual_access:  read_only
        .address_space:  global
        .offset:         24
        .size:           8
        .value_kind:     global_buffer
      - .offset:         32
        .size:           8
        .value_kind:     by_value
      - .actual_access:  read_only
        .address_space:  global
        .offset:         40
        .size:           8
        .value_kind:     global_buffer
      - .actual_access:  read_only
        .address_space:  global
        .offset:         48
        .size:           8
        .value_kind:     global_buffer
      - .offset:         56
        .size:           4
        .value_kind:     by_value
      - .actual_access:  read_only
        .address_space:  global
        .offset:         64
        .size:           8
        .value_kind:     global_buffer
      - .actual_access:  read_only
        .address_space:  global
        .offset:         72
        .size:           8
        .value_kind:     global_buffer
      - .address_space:  global
        .offset:         80
        .size:           8
        .value_kind:     global_buffer
    .group_segment_fixed_size: 0
    .kernarg_segment_align: 8
    .kernarg_segment_size: 88
    .language:       OpenCL C
    .language_version:
      - 2
      - 0
    .max_flat_workgroup_size: 63
    .name:           fft_rtc_back_len1260_factors_2_2_3_3_5_7_wgs_63_tpt_63_halfLds_half_ip_CI_unitstride_sbrr_R2C_dirReg
    .private_segment_fixed_size: 0
    .sgpr_count:     28
    .sgpr_spill_count: 0
    .symbol:         fft_rtc_back_len1260_factors_2_2_3_3_5_7_wgs_63_tpt_63_halfLds_half_ip_CI_unitstride_sbrr_R2C_dirReg.kd
    .uniform_work_group_size: 1
    .uses_dynamic_stack: false
    .vgpr_count:     113
    .vgpr_spill_count: 0
    .wavefront_size: 64
amdhsa.target:   amdgcn-amd-amdhsa--gfx950
amdhsa.version:
  - 1
  - 2
...

	.end_amdgpu_metadata
